;; amdgpu-corpus repo=ROCm/rocFFT kind=compiled arch=gfx1030 opt=O3
	.text
	.amdgcn_target "amdgcn-amd-amdhsa--gfx1030"
	.amdhsa_code_object_version 6
	.protected	bluestein_single_back_len1750_dim1_half_op_CI_CI ; -- Begin function bluestein_single_back_len1750_dim1_half_op_CI_CI
	.globl	bluestein_single_back_len1750_dim1_half_op_CI_CI
	.p2align	8
	.type	bluestein_single_back_len1750_dim1_half_op_CI_CI,@function
bluestein_single_back_len1750_dim1_half_op_CI_CI: ; @bluestein_single_back_len1750_dim1_half_op_CI_CI
; %bb.0:
	s_load_dwordx4 s[12:15], s[4:5], 0x28
	v_mul_u32_u24_e32 v1, 0x177, v0
	v_mov_b32_e32 v33, 0
	s_mov_b32 s0, exec_lo
	v_lshrrev_b32_e32 v1, 16, v1
	v_add_nc_u32_e32 v32, s6, v1
	s_waitcnt lgkmcnt(0)
	v_cmpx_gt_u64_e64 s[12:13], v[32:33]
	s_cbranch_execz .LBB0_10
; %bb.1:
	s_clause 0x1
	s_load_dwordx4 s[8:11], s[4:5], 0x18
	s_load_dwordx4 s[0:3], s[4:5], 0x0
	v_mul_lo_u16 v1, 0xaf, v1
	s_load_dwordx2 s[4:5], s[4:5], 0x38
	v_sub_nc_u16 v16, v0, v1
	v_and_b32_e32 v49, 0xffff, v16
	v_lshlrev_b32_e32 v51, 2, v49
	v_add_co_u32 v62, null, 0xaf, v49
	s_waitcnt lgkmcnt(0)
	s_load_dwordx4 s[16:19], s[8:9], 0x0
	v_lshlrev_b32_e32 v61, 3, v49
	v_add_co_u32 v12, s6, s0, v51
	v_add_co_ci_u32_e64 v13, null, s1, 0, s6
	v_add_nc_u32_e32 v19, 0x1000, v51
	v_add_nc_u32_e32 v20, 0x500, v51
	;; [unrolled: 1-line block ×4, first 2 shown]
	v_and_b32_e32 v25, 1, v62
	v_lshlrev_b32_e32 v53, 3, v62
	s_waitcnt lgkmcnt(0)
	v_mad_u64_u32 v[0:1], null, s18, v32, 0
	v_mad_u64_u32 v[2:3], null, s16, v49, 0
	s_mul_i32 s6, s17, 0xdac
	s_mul_hi_u32 s7, s16, 0xdac
	s_mul_i32 s8, s16, 0xdac
	s_add_i32 s7, s7, s6
	s_mul_hi_u32 s12, s16, 0xfffff510
	s_mul_i32 s9, s17, 0xfffff510
	v_mad_u64_u32 v[4:5], null, s19, v32, v[1:2]
	v_add_co_u32 v5, vcc_lo, 0x800, v12
	v_add_co_ci_u32_e32 v6, vcc_lo, 0, v13, vcc_lo
	s_mul_i32 s13, s16, 0xfffff510
	s_sub_i32 s6, s12, s16
	v_mad_u64_u32 v[7:8], null, s17, v49, v[3:4]
	v_mov_b32_e32 v1, v4
	v_add_co_u32 v8, vcc_lo, 0x1000, v12
	v_add_co_ci_u32_e32 v9, vcc_lo, 0, v13, vcc_lo
	v_lshlrev_b64 v[0:1], 2, v[0:1]
	v_mov_b32_e32 v3, v7
	s_clause 0x4
	global_load_dword v52, v51, s[0:1]
	global_load_dword v48, v51, s[0:1] offset:700
	global_load_dword v46, v51, s[0:1] offset:1400
	global_load_dword v50, v[5:6], off offset:1452
	global_load_dword v47, v[8:9], off offset:104
	s_add_i32 s6, s6, s9
	global_load_dword v45, v[8:9], off offset:804
	v_lshlrev_b64 v[2:3], 2, v[2:3]
	v_add_co_u32 v0, vcc_lo, s14, v0
	v_add_co_ci_u32_e32 v1, vcc_lo, s15, v1, vcc_lo
	v_add_co_u32 v0, vcc_lo, v0, v2
	v_add_co_ci_u32_e32 v1, vcc_lo, v1, v3, vcc_lo
	global_load_dword v4, v[0:1], off
	v_add_co_u32 v0, vcc_lo, v0, s8
	v_add_co_ci_u32_e32 v1, vcc_lo, s7, v1, vcc_lo
	v_add_co_u32 v2, vcc_lo, v0, s13
	v_add_co_ci_u32_e32 v3, vcc_lo, s6, v1, vcc_lo
	s_clause 0x1
	global_load_dword v7, v[0:1], off
	global_load_dword v14, v[2:3], off
	v_add_co_u32 v0, vcc_lo, v2, s8
	v_add_co_ci_u32_e32 v1, vcc_lo, s7, v3, vcc_lo
	v_add_co_u32 v2, vcc_lo, v0, s13
	v_add_co_ci_u32_e32 v3, vcc_lo, s6, v1, vcc_lo
	s_clause 0x1
	global_load_dword v15, v[0:1], off
	global_load_dword v17, v[2:3], off
	v_add_co_u32 v0, vcc_lo, v2, s8
	v_add_co_ci_u32_e32 v1, vcc_lo, s7, v3, vcc_lo
	v_add_co_u32 v2, vcc_lo, v0, s13
	v_add_co_ci_u32_e32 v3, vcc_lo, s6, v1, vcc_lo
	global_load_dword v22, v[0:1], off
	v_add_co_u32 v10, vcc_lo, v2, s8
	v_add_co_ci_u32_e32 v11, vcc_lo, s7, v3, vcc_lo
	v_add_co_u32 v0, vcc_lo, v10, s13
	v_add_co_ci_u32_e32 v1, vcc_lo, s6, v11, vcc_lo
	global_load_dword v23, v[2:3], off
	s_clause 0x1
	global_load_dword v44, v[5:6], off offset:52
	global_load_dword v43, v[8:9], off offset:1504
	global_load_dword v8, v[10:11], off
	global_load_dword v9, v[0:1], off
	v_add_co_u32 v0, vcc_lo, v0, s8
	v_add_co_ci_u32_e32 v1, vcc_lo, s7, v1, vcc_lo
	v_add_co_u32 v2, vcc_lo, 0x1800, v12
	v_add_co_ci_u32_e32 v3, vcc_lo, 0, v13, vcc_lo
	global_load_dword v0, v[0:1], off
	s_clause 0x1
	global_load_dword v42, v[5:6], off offset:752
	global_load_dword v41, v[2:3], off offset:156
	s_load_dwordx4 s[8:11], s[10:11], 0x0
	v_cmp_gt_u16_e32 vcc_lo, 0x4b, v16
	s_waitcnt vmcnt(13)
	v_lshrrev_b32_e32 v1, 16, v4
	v_mul_f16_sdwa v2, v52, v4 dst_sel:DWORD dst_unused:UNUSED_PAD src0_sel:WORD_1 src1_sel:DWORD
	v_mul_f16_sdwa v3, v52, v1 dst_sel:DWORD dst_unused:UNUSED_PAD src0_sel:WORD_1 src1_sel:DWORD
	v_fma_f16 v1, v52, v1, -v2
	s_waitcnt vmcnt(12)
	v_lshrrev_b32_e32 v5, 16, v7
	v_mul_f16_sdwa v6, v50, v7 dst_sel:DWORD dst_unused:UNUSED_PAD src0_sel:WORD_1 src1_sel:DWORD
	v_fmac_f16_e32 v3, v52, v4
	s_waitcnt vmcnt(11)
	v_lshrrev_b32_e32 v4, 16, v14
	v_mul_f16_sdwa v2, v50, v5 dst_sel:DWORD dst_unused:UNUSED_PAD src0_sel:WORD_1 src1_sel:DWORD
	v_fma_f16 v5, v50, v5, -v6
	v_mul_f16_sdwa v6, v48, v14 dst_sel:DWORD dst_unused:UNUSED_PAD src0_sel:WORD_1 src1_sel:DWORD
	v_pack_b32_f16 v1, v3, v1
	v_mul_f16_sdwa v3, v48, v4 dst_sel:DWORD dst_unused:UNUSED_PAD src0_sel:WORD_1 src1_sel:DWORD
	v_fmac_f16_e32 v2, v50, v7
	v_fma_f16 v4, v48, v4, -v6
	s_waitcnt vmcnt(10)
	v_lshrrev_b32_e32 v7, 16, v15
	v_mul_f16_sdwa v10, v47, v15 dst_sel:DWORD dst_unused:UNUSED_PAD src0_sel:WORD_1 src1_sel:DWORD
	v_pack_b32_f16 v2, v2, v5
	v_fmac_f16_e32 v3, v48, v14
	v_mul_f16_sdwa v5, v47, v7 dst_sel:DWORD dst_unused:UNUSED_PAD src0_sel:WORD_1 src1_sel:DWORD
	v_fma_f16 v6, v47, v7, -v10
	s_waitcnt vmcnt(9)
	v_lshrrev_b32_e32 v7, 16, v17
	v_mul_f16_sdwa v10, v46, v17 dst_sel:DWORD dst_unused:UNUSED_PAD src0_sel:WORD_1 src1_sel:DWORD
	ds_write_b32 v51, v2 offset:3500
	v_pack_b32_f16 v2, v3, v4
	v_fmac_f16_e32 v5, v47, v15
	v_mul_f16_sdwa v3, v46, v7 dst_sel:DWORD dst_unused:UNUSED_PAD src0_sel:WORD_1 src1_sel:DWORD
	v_fma_f16 v4, v46, v7, -v10
	s_waitcnt vmcnt(8)
	v_lshrrev_b32_e32 v7, 16, v22
	v_mul_f16_sdwa v10, v45, v22 dst_sel:DWORD dst_unused:UNUSED_PAD src0_sel:WORD_1 src1_sel:DWORD
	v_pack_b32_f16 v5, v5, v6
	v_fmac_f16_e32 v3, v46, v17
	s_waitcnt vmcnt(7)
	v_lshrrev_b32_e32 v6, 16, v23
	v_mul_f16_sdwa v11, v45, v7 dst_sel:DWORD dst_unused:UNUSED_PAD src0_sel:WORD_1 src1_sel:DWORD
	v_fma_f16 v7, v45, v7, -v10
	s_waitcnt vmcnt(6)
	v_mul_f16_sdwa v10, v44, v23 dst_sel:DWORD dst_unused:UNUSED_PAD src0_sel:WORD_1 src1_sel:DWORD
	v_pack_b32_f16 v3, v3, v4
	v_mul_f16_sdwa v4, v44, v6 dst_sel:DWORD dst_unused:UNUSED_PAD src0_sel:WORD_1 src1_sel:DWORD
	s_waitcnt vmcnt(4)
	v_lshrrev_b32_e32 v12, 16, v8
	s_waitcnt vmcnt(3)
	v_lshrrev_b32_e32 v13, 16, v9
	v_fma_f16 v6, v44, v6, -v10
	v_mul_f16_sdwa v10, v43, v8 dst_sel:DWORD dst_unused:UNUSED_PAD src0_sel:WORD_1 src1_sel:DWORD
	v_fmac_f16_e32 v11, v45, v22
	v_mul_f16_sdwa v14, v43, v12 dst_sel:DWORD dst_unused:UNUSED_PAD src0_sel:WORD_1 src1_sel:DWORD
	s_waitcnt vmcnt(2)
	v_lshrrev_b32_e32 v15, 16, v0
	s_waitcnt vmcnt(1)
	v_mul_f16_sdwa v17, v42, v13 dst_sel:DWORD dst_unused:UNUSED_PAD src0_sel:WORD_1 src1_sel:DWORD
	v_fma_f16 v10, v43, v12, -v10
	v_mul_f16_sdwa v12, v42, v9 dst_sel:DWORD dst_unused:UNUSED_PAD src0_sel:WORD_1 src1_sel:DWORD
	v_fmac_f16_e32 v4, v44, v23
	s_waitcnt vmcnt(0)
	v_mul_f16_sdwa v22, v41, v0 dst_sel:DWORD dst_unused:UNUSED_PAD src0_sel:WORD_1 src1_sel:DWORD
	v_mul_f16_sdwa v23, v41, v15 dst_sel:DWORD dst_unused:UNUSED_PAD src0_sel:WORD_1 src1_sel:DWORD
	v_fmac_f16_e32 v14, v43, v8
	v_fma_f16 v8, v42, v13, -v12
	v_fmac_f16_e32 v17, v42, v9
	v_fma_f16 v9, v41, v15, -v22
	v_fmac_f16_e32 v23, v41, v0
	v_pack_b32_f16 v0, v11, v7
	v_pack_b32_f16 v4, v4, v6
	;; [unrolled: 1-line block ×5, first 2 shown]
	ds_write2_b32 v51, v1, v2 offset1:175
	ds_write2_b32 v19, v5, v0 offset0:26 offset1:201
	ds_write2_b32 v20, v3, v4 offset0:30 offset1:205
	ds_write_b32 v51, v7 offset:2800
	ds_write2_b32 v18, v6, v8 offset0:56 offset1:231
	s_waitcnt lgkmcnt(0)
	s_barrier
	buffer_gl0_inv
	ds_read2_b32 v[0:1], v51 offset1:175
	ds_read2_b32 v[2:3], v19 offset0:26 offset1:201
	ds_read2_b32 v[4:5], v21 offset0:60 offset1:235
	;; [unrolled: 1-line block ×4, first 2 shown]
	v_mov_b32_e32 v17, 2
	v_lshlrev_b16 v10, 1, v16
	v_and_b32_e32 v22, 1, v49
	v_lshlrev_b32_e32 v15, 4, v25
	v_add_nc_u32_e32 v13, 0xa00, v61
	s_waitcnt lgkmcnt(0)
	v_lshlrev_b32_sdwa v54, v17, v10 dst_sel:DWORD dst_unused:UNUSED_PAD src0_sel:DWORD src1_sel:WORD_0
	v_lshlrev_b32_e32 v14, 4, v22
	s_barrier
	buffer_gl0_inv
	v_pk_add_f16 v2, v1, v2 neg_lo:[0,1] neg_hi:[0,1]
	v_pk_add_f16 v10, v0, v5 neg_lo:[0,1] neg_hi:[0,1]
	;; [unrolled: 1-line block ×5, first 2 shown]
	v_pk_fma_f16 v1, v1, 2.0, v2 op_sel_hi:[1,0,1] neg_lo:[0,0,1] neg_hi:[0,0,1]
	v_pk_fma_f16 v9, v0, 2.0, v10 op_sel_hi:[1,0,1] neg_lo:[0,0,1] neg_hi:[0,0,1]
	;; [unrolled: 1-line block ×5, first 2 shown]
	ds_write_b64 v54, v[9:10]
	ds_write_b64 v53, v[1:2]
	ds_write2_b64 v13, v[11:12], v[7:8] offset0:30 offset1:205
	ds_write_b64 v61, v[4:5] offset:5600
	s_waitcnt lgkmcnt(0)
	s_barrier
	buffer_gl0_inv
	s_clause 0x1
	global_load_dwordx4 v[4:7], v14, s[2:3]
	global_load_dwordx4 v[0:3], v15, s[2:3]
	v_mov_b32_e32 v8, 0xcccd
	v_and_b32_e32 v9, 0xff, v16
	v_lshrrev_b32_e32 v10, 1, v62
	v_mul_u32_u24_sdwa v8, v62, v8 dst_sel:DWORD dst_unused:UNUSED_PAD src0_sel:WORD_0 src1_sel:DWORD
	v_mul_lo_u16 v9, 0xcd, v9
	v_mul_u32_u24_e32 v27, 10, v10
	v_lshrrev_b32_e32 v30, 19, v8
	v_lshrrev_b16 v31, 11, v9
	v_lshrrev_b32_e32 v9, 1, v49
	v_or_b32_e32 v25, v27, v25
	v_mul_lo_u16 v8, v30, 10
	v_mul_lo_u16 v11, v31, 10
	v_mul_u32_u24_e32 v26, 10, v9
	v_lshlrev_b32_e32 v55, 2, v25
	v_sub_nc_u16 v33, v62, v8
	v_sub_nc_u16 v28, v16, v11
	ds_read2_b32 v[8:9], v51 offset1:175
	ds_read2_b32 v[10:11], v20 offset0:30 offset1:205
	ds_read2_b32 v[12:13], v21 offset0:60 offset1:235
	;; [unrolled: 1-line block ×4, first 2 shown]
	v_or_b32_e32 v26, v26, v22
	s_waitcnt vmcnt(0) lgkmcnt(0)
	v_lshlrev_b16 v29, 4, v33
	v_and_b32_e32 v22, 0xff, v28
	s_barrier
	v_lshlrev_b32_e32 v56, 2, v26
	buffer_gl0_inv
	v_and_b32_e32 v27, 0xffff, v29
	v_lshlrev_b32_e32 v28, 4, v22
	v_mad_u16 v30, v30, 50, v33
	v_add_nc_u32_e32 v33, 0xfa0, v51
	v_add_co_u32 v25, s6, s2, v27
	v_add_co_ci_u32_e64 v26, null, s3, 0, s6
	v_lshrrev_b32_e32 v29, 16, v10
	v_lshrrev_b32_e32 v34, 16, v12
	;; [unrolled: 1-line block ×10, first 2 shown]
	v_mul_f16_sdwa v58, v29, v4 dst_sel:DWORD dst_unused:UNUSED_PAD src0_sel:DWORD src1_sel:WORD_1
	v_mul_f16_sdwa v59, v10, v4 dst_sel:DWORD dst_unused:UNUSED_PAD src0_sel:DWORD src1_sel:WORD_1
	;; [unrolled: 1-line block ×16, first 2 shown]
	v_fma_f16 v10, v10, v4, -v58
	v_fma_f16 v11, v11, v0, -v63
	;; [unrolled: 1-line block ×4, first 2 shown]
	v_fmac_f16_e32 v59, v29, v4
	v_fmac_f16_e32 v64, v34, v5
	;; [unrolled: 1-line block ×4, first 2 shown]
	v_fma_f16 v14, v14, v6, -v65
	v_fma_f16 v23, v23, v7, -v70
	;; [unrolled: 1-line block ×4, first 2 shown]
	v_fmac_f16_e32 v67, v37, v0
	v_fmac_f16_e32 v69, v38, v1
	;; [unrolled: 1-line block ×4, first 2 shown]
	v_sub_f16_e32 v29, v10, v12
	v_sub_f16_e32 v34, v23, v14
	;; [unrolled: 1-line block ×4, first 2 shown]
	v_add_f16_e32 v37, v64, v68
	v_sub_f16_e32 v38, v59, v64
	v_sub_f16_e32 v39, v71, v68
	v_add_f16_e32 v58, v27, v59
	v_sub_f16_e32 v65, v11, v13
	v_sub_f16_e32 v66, v24, v15
	v_add_f16_e32 v85, v8, v10
	v_add_f16_e32 v86, v12, v14
	;; [unrolled: 1-line block ×6, first 2 shown]
	v_sub_f16_e32 v60, v64, v59
	v_sub_f16_e32 v63, v68, v71
	v_add_f16_e32 v70, v13, v15
	v_add_f16_e32 v80, v69, v73
	;; [unrolled: 1-line block ×4, first 2 shown]
	v_sub_f16_e32 v87, v12, v14
	v_sub_f16_e32 v10, v10, v23
	;; [unrolled: 1-line block ×3, first 2 shown]
	v_add_f16_e32 v29, v29, v34
	v_add_f16_e32 v34, v35, v36
	;; [unrolled: 1-line block ×3, first 2 shown]
	v_fma_f16 v36, -0.5, v37, v27
	v_add_f16_e32 v38, v65, v66
	v_add_f16_e32 v12, v85, v12
	;; [unrolled: 1-line block ×3, first 2 shown]
	v_fma_f16 v66, -0.5, v86, v8
	v_sub_f16_e32 v76, v13, v11
	v_sub_f16_e32 v88, v64, v68
	;; [unrolled: 1-line block ×3, first 2 shown]
	v_fmac_f16_e32 v27, -0.5, v40
	v_add_f16_e32 v13, v74, v13
	v_add_f16_e32 v64, v82, v69
	v_fma_f16 v8, -0.5, v91, v8
	v_sub_f16_e32 v78, v67, v69
	v_sub_f16_e32 v83, v69, v67
	;; [unrolled: 1-line block ×4, first 2 shown]
	v_add_f16_e32 v37, v60, v63
	v_fma_f16 v39, -0.5, v70, v9
	v_fma_f16 v63, -0.5, v80, v57
	v_sub_f16_e32 v90, v69, v73
	v_fmac_f16_e32 v9, -0.5, v72
	v_fmac_f16_e32 v57, -0.5, v81
	v_add_f16_e32 v12, v12, v14
	v_add_f16_e32 v14, v58, v68
	v_fmamk_f16 v58, v59, 0x3b9c, v66
	v_fmamk_f16 v68, v10, 0xbb9c, v36
	v_sub_f16_e32 v77, v15, v24
	v_add_f16_e32 v13, v13, v15
	v_add_f16_e32 v15, v64, v73
	v_fmamk_f16 v64, v88, 0xbb9c, v8
	v_fmac_f16_e32 v8, 0x3b9c, v88
	v_fmamk_f16 v69, v87, 0x3b9c, v27
	v_fmac_f16_e32 v27, 0xbb9c, v87
	v_fmac_f16_e32 v66, 0xbb9c, v59
	;; [unrolled: 1-line block ×3, first 2 shown]
	v_sub_f16_e32 v79, v75, v73
	v_sub_f16_e32 v84, v73, v75
	v_fmamk_f16 v70, v67, 0x3b9c, v39
	v_fmamk_f16 v73, v11, 0xbb9c, v63
	v_fmamk_f16 v72, v90, 0xbb9c, v9
	v_fmac_f16_e32 v9, 0x3b9c, v90
	v_fmamk_f16 v74, v89, 0x3b9c, v57
	v_fmac_f16_e32 v57, 0xbb9c, v89
	v_fmac_f16_e32 v39, 0xbb9c, v67
	;; [unrolled: 1-line block ×11, first 2 shown]
	v_add_f16_e32 v60, v78, v79
	v_fmac_f16_e32 v70, 0x38b4, v90
	v_fmac_f16_e32 v73, 0xb8b4, v89
	v_add_f16_e32 v40, v76, v77
	v_add_f16_e32 v65, v83, v84
	v_fmac_f16_e32 v72, 0x38b4, v67
	v_fmac_f16_e32 v9, 0xb8b4, v67
	v_fmac_f16_e32 v74, 0xb8b4, v11
	v_fmac_f16_e32 v57, 0x38b4, v11
	v_add_f16_e32 v12, v12, v23
	v_add_f16_e32 v14, v14, v71
	v_fmac_f16_e32 v39, 0xb8b4, v90
	v_fmac_f16_e32 v63, 0x38b4, v89
	;; [unrolled: 6-line block ×3, first 2 shown]
	v_fmac_f16_e32 v69, 0x34f2, v37
	v_fmac_f16_e32 v27, 0x34f2, v37
	;; [unrolled: 1-line block ×12, first 2 shown]
	v_pack_b32_f16 v11, v12, v14
	v_pack_b32_f16 v12, v58, v68
	;; [unrolled: 1-line block ×10, first 2 shown]
	ds_write2_b32 v56, v11, v12 offset1:2
	ds_write2_b32 v56, v13, v8 offset0:4 offset1:6
	ds_write_b32 v56, v14 offset:32
	ds_write2_b32 v55, v10, v15 offset1:2
	ds_write2_b32 v55, v23, v9 offset0:4 offset1:6
	ds_write_b32 v55, v24 offset:32
	s_waitcnt lgkmcnt(0)
	s_barrier
	buffer_gl0_inv
	s_clause 0x1
	global_load_dwordx4 v[12:15], v28, s[2:3] offset:32
	global_load_dwordx4 v[8:11], v[25:26], off offset:32
	ds_read2_b32 v[26:27], v20 offset0:30 offset1:205
	ds_read2_b32 v[20:21], v21 offset0:60 offset1:235
	;; [unrolled: 1-line block ×4, first 2 shown]
	ds_read2_b32 v[24:25], v51 offset1:175
	v_mov_b32_e32 v23, 50
	v_lshlrev_b32_sdwa v59, v17, v30 dst_sel:DWORD dst_unused:UNUSED_PAD src0_sel:DWORD src1_sel:WORD_0
	s_waitcnt vmcnt(0) lgkmcnt(0)
	s_barrier
	buffer_gl0_inv
	v_mul_u32_u24_sdwa v23, v31, v23 dst_sel:DWORD dst_unused:UNUSED_PAD src0_sel:WORD_0 src1_sel:DWORD
	v_add_nc_u32_e32 v31, 0x7c0, v51
	v_add_lshl_u32 v60, v23, v22, 2
	v_lshrrev_b32_e32 v17, 16, v26
	v_lshrrev_b32_e32 v22, 16, v20
	;; [unrolled: 1-line block ×10, first 2 shown]
	v_mul_f16_sdwa v39, v17, v12 dst_sel:DWORD dst_unused:UNUSED_PAD src0_sel:DWORD src1_sel:WORD_1
	v_mul_f16_sdwa v40, v26, v12 dst_sel:DWORD dst_unused:UNUSED_PAD src0_sel:DWORD src1_sel:WORD_1
	;; [unrolled: 1-line block ×16, first 2 shown]
	v_fma_f16 v26, v26, v12, -v39
	v_fma_f16 v27, v27, v8, -v58
	;; [unrolled: 1-line block ×6, first 2 shown]
	v_fmac_f16_e32 v40, v17, v12
	v_fmac_f16_e32 v64, v22, v13
	;; [unrolled: 1-line block ×4, first 2 shown]
	v_fma_f16 v17, v18, v15, -v73
	v_fma_f16 v18, v19, v11, -v74
	v_fmac_f16_e32 v67, v30, v8
	v_fmac_f16_e32 v69, v34, v9
	;; [unrolled: 1-line block ×4, first 2 shown]
	v_sub_f16_e32 v19, v26, v20
	v_sub_f16_e32 v22, v17, v39
	;; [unrolled: 1-line block ×6, first 2 shown]
	v_add_f16_e32 v35, v64, v70
	v_add_f16_e32 v37, v38, v40
	v_sub_f16_e32 v65, v27, v21
	v_sub_f16_e32 v66, v18, v29
	v_add_f16_e32 v85, v24, v26
	v_add_f16_e32 v86, v20, v39
	;; [unrolled: 1-line block ×10, first 2 shown]
	v_sub_f16_e32 v57, v64, v40
	v_sub_f16_e32 v87, v20, v39
	;; [unrolled: 1-line block ×4, first 2 shown]
	v_add_f16_e32 v19, v19, v22
	v_add_f16_e32 v22, v23, v28
	;; [unrolled: 1-line block ×3, first 2 shown]
	v_fma_f16 v30, -0.5, v35, v38
	v_add_f16_e32 v35, v65, v66
	v_add_f16_e32 v20, v85, v20
	;; [unrolled: 1-line block ×3, first 2 shown]
	v_fma_f16 v66, -0.5, v86, v24
	v_sub_f16_e32 v76, v21, v27
	v_sub_f16_e32 v88, v64, v70
	;; [unrolled: 1-line block ×3, first 2 shown]
	v_fmac_f16_e32 v38, -0.5, v36
	v_fma_f16 v28, -0.5, v68, v25
	v_add_f16_e32 v21, v74, v21
	v_add_f16_e32 v64, v82, v69
	v_fma_f16 v68, -0.5, v91, v24
	v_sub_f16_e32 v78, v67, v69
	v_sub_f16_e32 v83, v69, v67
	;; [unrolled: 1-line block ×4, first 2 shown]
	v_fma_f16 v65, -0.5, v80, v63
	v_sub_f16_e32 v90, v69, v71
	v_fmac_f16_e32 v25, -0.5, v73
	v_fmac_f16_e32 v63, -0.5, v81
	v_sub_f16_e32 v58, v70, v72
	v_add_f16_e32 v20, v20, v39
	v_add_f16_e32 v37, v37, v70
	v_fmamk_f16 v39, v40, 0x3b9c, v66
	v_fmamk_f16 v70, v26, 0xbb9c, v30
	v_sub_f16_e32 v77, v29, v18
	v_sub_f16_e32 v79, v75, v71
	v_sub_f16_e32 v84, v71, v75
	v_add_f16_e32 v21, v21, v29
	v_add_f16_e32 v29, v64, v71
	v_fmamk_f16 v69, v88, 0xbb9c, v68
	v_fmac_f16_e32 v68, 0x3b9c, v88
	v_fmamk_f16 v71, v87, 0x3b9c, v38
	v_fmac_f16_e32 v38, 0xbb9c, v87
	v_fmac_f16_e32 v66, 0xbb9c, v40
	;; [unrolled: 1-line block ×3, first 2 shown]
	v_fmamk_f16 v73, v67, 0x3b9c, v28
	v_fmamk_f16 v74, v27, 0xbb9c, v65
	;; [unrolled: 1-line block ×3, first 2 shown]
	v_fmac_f16_e32 v25, 0x3b9c, v90
	v_fmamk_f16 v64, v89, 0x3b9c, v63
	v_fmac_f16_e32 v63, 0xbb9c, v89
	v_fmac_f16_e32 v28, 0xbb9c, v67
	;; [unrolled: 1-line block ×5, first 2 shown]
	v_add_f16_e32 v34, v57, v58
	v_fmac_f16_e32 v69, 0x38b4, v40
	v_fmac_f16_e32 v68, 0xb8b4, v40
	;; [unrolled: 1-line block ×6, first 2 shown]
	v_add_f16_e32 v57, v78, v79
	v_fmac_f16_e32 v73, 0x38b4, v90
	v_fmac_f16_e32 v74, 0xb8b4, v89
	v_add_f16_e32 v36, v76, v77
	v_add_f16_e32 v58, v83, v84
	v_fmac_f16_e32 v24, 0x38b4, v67
	v_fmac_f16_e32 v25, 0xb8b4, v67
	v_fmac_f16_e32 v64, 0xb8b4, v27
	v_fmac_f16_e32 v63, 0x38b4, v27
	v_add_f16_e32 v17, v20, v17
	v_add_f16_e32 v20, v37, v72
	v_fmac_f16_e32 v28, 0xb8b4, v90
	v_fmac_f16_e32 v65, 0x38b4, v89
	;; [unrolled: 6-line block ×3, first 2 shown]
	v_fmac_f16_e32 v71, 0x34f2, v34
	v_fmac_f16_e32 v38, 0x34f2, v34
	;; [unrolled: 1-line block ×12, first 2 shown]
	v_pack_b32_f16 v17, v17, v20
	v_pack_b32_f16 v19, v39, v70
	v_pack_b32_f16 v18, v18, v21
	v_pack_b32_f16 v20, v69, v71
	v_pack_b32_f16 v21, v68, v38
	v_pack_b32_f16 v22, v66, v30
	v_pack_b32_f16 v23, v73, v74
	v_pack_b32_f16 v26, v24, v64
	v_pack_b32_f16 v27, v25, v63
	v_pack_b32_f16 v29, v28, v65
	ds_write2_b32 v60, v17, v19 offset1:10
	ds_write2_b32 v60, v20, v21 offset0:20 offset1:30
	ds_write_b32 v60, v22 offset:160
	ds_write2_b32 v59, v18, v23 offset1:10
	ds_write2_b32 v59, v26, v27 offset0:20 offset1:30
	ds_write_b32 v59, v29 offset:160
	s_waitcnt lgkmcnt(0)
	s_barrier
	buffer_gl0_inv
	ds_read2_b32 v[26:27], v51 offset1:250
	ds_read2_b32 v[37:38], v31 offset0:4 offset1:254
	ds_read2_b32 v[30:31], v33 offset1:250
	ds_read_b32 v66, v51 offset:6000
                                        ; implicit-def: $vgpr69
                                        ; implicit-def: $vgpr40
                                        ; implicit-def: $vgpr70
                                        ; implicit-def: $vgpr67
                                        ; implicit-def: $vgpr73
                                        ; implicit-def: $vgpr74
	s_and_saveexec_b32 s6, vcc_lo
	s_cbranch_execz .LBB0_3
; %bb.2:
	v_add_nc_u32_e32 v16, 0x2b0, v51
	v_add_nc_u32_e32 v17, 0xa80, v51
	;; [unrolled: 1-line block ×3, first 2 shown]
	ds_read2_b32 v[24:25], v16 offset0:3 offset1:253
	ds_read2_b32 v[28:29], v17 offset0:3 offset1:253
	;; [unrolled: 1-line block ×3, first 2 shown]
	ds_read_b32 v67, v51 offset:6700
	s_waitcnt lgkmcnt(3)
	v_lshrrev_b32_e32 v64, 16, v24
	v_lshrrev_b32_e32 v63, 16, v25
	s_waitcnt lgkmcnt(2)
	v_lshrrev_b32_e32 v65, 16, v28
	v_lshrrev_b32_e32 v69, 16, v29
	;; [unrolled: 3-line block ×3, first 2 shown]
	s_waitcnt lgkmcnt(0)
	v_lshrrev_b32_e32 v73, 16, v67
.LBB0_3:
	s_or_b32 exec_lo, exec_lo, s6
	v_and_b32_e32 v16, 0xff, v49
	v_lshrrev_b16 v17, 1, v62
	v_mov_b32_e32 v18, 0x147b
	v_mov_b32_e32 v77, 0x15e
	v_add_nc_u32_e32 v68, 0xaf0, v61
	v_mul_lo_u16 v16, v16, 41
	v_add_nc_u32_e32 v72, 0x1068, v61
	v_add_nc_u32_e32 v71, 0x15e0, v61
	s_waitcnt lgkmcnt(3)
	v_lshrrev_b32_e32 v78, 16, v27
	s_waitcnt lgkmcnt(2)
	v_lshrrev_b32_e32 v79, 16, v37
	v_lshrrev_b16 v75, 11, v16
	v_mul_u32_u24_sdwa v16, v17, v18 dst_sel:DWORD dst_unused:UNUSED_PAD src0_sel:WORD_0 src1_sel:DWORD
	s_waitcnt lgkmcnt(1)
	v_lshrrev_b32_e32 v80, 16, v31
	s_waitcnt lgkmcnt(0)
	v_lshrrev_b32_e32 v81, 16, v66
	v_mul_lo_u16 v17, v75, 50
	v_lshrrev_b32_e32 v57, 17, v16
	v_mul_u32_u24_sdwa v61, v75, v77 dst_sel:DWORD dst_unused:UNUSED_PAD src0_sel:WORD_0 src1_sel:DWORD
	v_lshrrev_b32_e32 v75, 16, v38
	v_lshrrev_b32_e32 v77, 16, v30
	v_sub_nc_u16 v16, v49, v17
	v_mul_lo_u16 v17, v57, 50
	v_and_b32_e32 v76, 0xff, v16
	v_sub_nc_u16 v58, v62, v17
	v_mad_u64_u32 v[16:17], null, v76, 24, s[2:3]
	v_mul_lo_u16 v18, v58, 24
	v_add_lshl_u32 v61, v61, v76, 2
	v_and_b32_e32 v18, 0xffff, v18
	global_load_dwordx4 v[20:23], v[16:17], off offset:192
	v_add_co_u32 v33, s6, s2, v18
	v_add_co_ci_u32_e64 v34, null, s3, 0, s6
	s_clause 0x2
	global_load_dwordx2 v[35:36], v[16:17], off offset:208
	global_load_dwordx4 v[16:19], v[33:34], off offset:192
	global_load_dwordx2 v[33:34], v[33:34], off offset:208
	s_waitcnt vmcnt(0)
	s_barrier
	buffer_gl0_inv
	v_mul_f16_sdwa v76, v78, v20 dst_sel:DWORD dst_unused:UNUSED_PAD src0_sel:DWORD src1_sel:WORD_1
	v_mul_f16_sdwa v82, v27, v20 dst_sel:DWORD dst_unused:UNUSED_PAD src0_sel:DWORD src1_sel:WORD_1
	;; [unrolled: 1-line block ×24, first 2 shown]
	v_fma_f16 v27, v27, v20, -v76
	v_fmac_f16_e32 v82, v78, v20
	v_fma_f16 v37, v37, v21, -v83
	v_fmac_f16_e32 v84, v79, v21
	;; [unrolled: 2-line block ×12, first 2 shown]
	v_add_f16_e32 v65, v27, v66
	v_add_f16_e32 v67, v82, v92
	;; [unrolled: 1-line block ×4, first 2 shown]
	v_sub_f16_e32 v27, v27, v66
	v_sub_f16_e32 v66, v82, v92
	;; [unrolled: 1-line block ×4, first 2 shown]
	v_add_f16_e32 v73, v38, v30
	v_add_f16_e32 v74, v86, v88
	v_sub_f16_e32 v30, v30, v38
	v_sub_f16_e32 v38, v88, v86
	v_add_f16_e32 v75, v25, v63
	v_add_f16_e32 v76, v94, v104
	v_sub_f16_e32 v25, v25, v63
	v_sub_f16_e32 v63, v94, v104
	;; [unrolled: 4-line block ×3, first 2 shown]
	v_add_f16_e32 v79, v29, v39
	v_sub_f16_e32 v29, v39, v29
	v_sub_f16_e32 v39, v100, v98
	v_add_f16_e32 v81, v69, v65
	v_add_f16_e32 v82, v70, v67
	;; [unrolled: 1-line block ×3, first 2 shown]
	v_sub_f16_e32 v83, v69, v65
	v_sub_f16_e32 v84, v70, v67
	;; [unrolled: 1-line block ×6, first 2 shown]
	v_add_f16_e32 v85, v30, v31
	v_add_f16_e32 v86, v38, v37
	v_sub_f16_e32 v87, v30, v31
	v_sub_f16_e32 v88, v38, v37
	;; [unrolled: 1-line block ×4, first 2 shown]
	v_add_f16_e32 v89, v77, v75
	v_add_f16_e32 v90, v78, v76
	v_sub_f16_e32 v91, v77, v75
	v_sub_f16_e32 v75, v75, v79
	v_add_f16_e32 v94, v39, v40
	v_sub_f16_e32 v95, v29, v28
	v_sub_f16_e32 v96, v39, v40
	;; [unrolled: 1-line block ×3, first 2 shown]
	v_add_f16_e32 v73, v73, v81
	v_add_f16_e32 v74, v74, v82
	v_sub_f16_e32 v30, v27, v30
	v_sub_f16_e32 v38, v66, v38
	;; [unrolled: 1-line block ×6, first 2 shown]
	v_add_f16_e32 v93, v29, v28
	v_sub_f16_e32 v39, v63, v39
	v_sub_f16_e32 v28, v28, v25
	v_add_f16_e32 v81, v85, v27
	v_add_f16_e32 v66, v86, v66
	v_mul_f16_e32 v27, 0x3a52, v65
	v_mul_f16_e32 v65, 0x3a52, v67
	;; [unrolled: 1-line block ×8, first 2 shown]
	v_add_f16_e32 v79, v79, v89
	v_add_f16_e32 v80, v80, v90
	;; [unrolled: 1-line block ×3, first 2 shown]
	v_mul_f16_e32 v75, 0x3a52, v75
	v_mul_f16_e32 v94, 0xb846, v95
	;; [unrolled: 1-line block ×4, first 2 shown]
	v_add_f16_e32 v98, v26, v73
	v_add_f16_sdwa v99, v26, v74 dst_sel:DWORD dst_unused:UNUSED_PAD src0_sel:WORD_1 src1_sel:DWORD
	v_sub_f16_e32 v29, v25, v29
	v_add_f16_e32 v89, v93, v25
	v_mul_f16_e32 v76, 0x3a52, v76
	v_mul_f16_e32 v90, 0x2b26, v77
	v_mul_f16_e32 v93, 0x2b26, v78
	v_mul_f16_e32 v96, 0x3b00, v28
	v_fmamk_f16 v69, v69, 0x2b26, v27
	v_fmamk_f16 v70, v70, 0x2b26, v65
	v_fma_f16 v67, v83, 0x39e0, -v67
	v_fma_f16 v82, v84, 0x39e0, -v82
	;; [unrolled: 1-line block ×4, first 2 shown]
	v_fmamk_f16 v84, v30, 0x3574, v85
	v_fmamk_f16 v100, v38, 0x3574, v86
	v_fma_f16 v85, v31, 0x3b00, -v85
	v_fma_f16 v86, v37, 0x3b00, -v86
	;; [unrolled: 1-line block ×4, first 2 shown]
	v_add_f16_e32 v24, v24, v79
	v_add_f16_e32 v25, v64, v80
	v_fmamk_f16 v30, v77, 0x2b26, v75
	v_fmamk_f16 v27, v39, 0x3574, v95
	v_fma_f16 v77, v28, 0x3b00, -v94
	v_fma_f16 v40, v40, 0x3b00, -v95
	;; [unrolled: 1-line block ×3, first 2 shown]
	v_fmamk_f16 v39, v73, 0xbcab, v98
	v_fmamk_f16 v73, v74, 0xbcab, v99
	;; [unrolled: 1-line block ×3, first 2 shown]
	v_fma_f16 v37, v91, 0x39e0, -v90
	v_fma_f16 v64, v92, 0x39e0, -v93
	;; [unrolled: 1-line block ×4, first 2 shown]
	v_fmamk_f16 v26, v29, 0x3574, v94
	v_fma_f16 v29, v29, 0xb574, -v96
	v_fmac_f16_e32 v84, 0x370e, v81
	v_fmac_f16_e32 v100, 0x370e, v66
	;; [unrolled: 1-line block ×5, first 2 shown]
	v_fmamk_f16 v66, v79, 0xbcab, v24
	v_fmamk_f16 v78, v80, 0xbcab, v25
	v_fmac_f16_e32 v27, 0x370e, v63
	v_fmac_f16_e32 v40, 0x370e, v63
	v_fmac_f16_e32 v28, 0x370e, v63
	v_add_f16_e32 v63, v69, v39
	v_add_f16_e32 v70, v70, v73
	;; [unrolled: 1-line block ×4, first 2 shown]
	v_fmac_f16_e32 v87, 0x370e, v81
	v_add_f16_e32 v39, v83, v39
	v_add_f16_e32 v65, v65, v73
	v_fmac_f16_e32 v26, 0x370e, v89
	v_fmac_f16_e32 v77, 0x370e, v89
	;; [unrolled: 1-line block ×3, first 2 shown]
	v_add_f16_e32 v30, v30, v66
	v_add_f16_e32 v31, v31, v78
	v_add_f16_e32 v73, v37, v66
	v_add_f16_e32 v64, v64, v78
	v_add_f16_e32 v37, v75, v66
	v_add_f16_e32 v69, v76, v78
	v_add_f16_e32 v75, v100, v63
	v_sub_f16_e32 v76, v70, v84
	v_sub_f16_e32 v81, v67, v86
	v_add_f16_e32 v82, v85, v79
	v_add_f16_e32 v67, v86, v67
	v_sub_f16_e32 v79, v79, v85
	v_add_f16_e32 v78, v38, v39
	v_sub_f16_e32 v80, v65, v87
	v_sub_f16_e32 v83, v39, v38
	v_add_f16_e32 v85, v87, v65
	v_sub_f16_e32 v86, v63, v100
	v_add_f16_e32 v70, v84, v70
	v_pack_b32_f16 v74, v98, v99
	v_sub_f16_e32 v38, v73, v40
	v_add_f16_e32 v63, v77, v64
	v_add_f16_e32 v39, v40, v73
	v_sub_f16_e32 v64, v64, v77
	v_sub_f16_e32 v40, v37, v28
	v_add_f16_e32 v65, v29, v69
	v_sub_f16_e32 v66, v30, v27
	v_pack_b32_f16 v73, v75, v76
	v_pack_b32_f16 v77, v67, v79
	v_add_f16_e32 v67, v26, v31
	v_pack_b32_f16 v75, v78, v80
	v_pack_b32_f16 v76, v81, v82
	v_pack_b32_f16 v78, v83, v85
	v_pack_b32_f16 v70, v86, v70
	ds_write2_b32 v61, v74, v73 offset1:50
	ds_write2_b32 v61, v75, v76 offset0:100 offset1:150
	ds_write2_b32 v61, v77, v78 offset0:200 offset1:250
	ds_write_b32 v61, v70 offset:1200
	s_and_saveexec_b32 s6, vcc_lo
	s_cbranch_execz .LBB0_5
; %bb.4:
	v_sub_f16_e32 v29, v69, v29
	v_mad_u16 v69, 0x15e, v57, v58
	v_mov_b32_e32 v70, 2
	v_sub_f16_e32 v26, v31, v26
	v_add_f16_e32 v27, v27, v30
	v_add_f16_e32 v28, v28, v37
	v_perm_b32 v24, v25, v24, 0x5040100
	v_lshlrev_b32_sdwa v30, v70, v69 dst_sel:DWORD dst_unused:UNUSED_PAD src0_sel:DWORD src1_sel:WORD_0
	v_perm_b32 v31, v67, v66, 0x5040100
	v_pack_b32_f16 v25, v27, v26
	v_pack_b32_f16 v26, v28, v29
	v_perm_b32 v27, v63, v38, 0x5040100
	v_perm_b32 v28, v64, v39, 0x5040100
	;; [unrolled: 1-line block ×3, first 2 shown]
	ds_write2_b32 v30, v24, v25 offset1:50
	ds_write2_b32 v30, v26, v27 offset0:100 offset1:150
	ds_write2_b32 v30, v28, v29 offset0:200 offset1:250
	ds_write_b32 v30, v31 offset:1200
.LBB0_5:
	s_or_b32 exec_lo, exec_lo, s6
	v_lshlrev_b32_e32 v24, 4, v49
	s_waitcnt lgkmcnt(0)
	s_barrier
	buffer_gl0_inv
	v_add_nc_u32_e32 v70, 0x500, v51
	global_load_dwordx4 v[28:31], v24, s[2:3] offset:1392
	v_lshlrev_b32_e32 v24, 4, v62
	v_add_nc_u32_e32 v69, 0xa00, v51
	v_add_nc_u32_e32 v62, 0x1000, v51
	;; [unrolled: 1-line block ×3, first 2 shown]
	ds_read2_b32 v[73:74], v51 offset1:175
	global_load_dwordx4 v[24:27], v24, s[2:3] offset:1392
	ds_read2_b32 v[75:76], v70 offset0:30 offset1:205
	ds_read2_b32 v[77:78], v69 offset0:60 offset1:235
	;; [unrolled: 1-line block ×4, first 2 shown]
	v_lshlrev_b32_e32 v83, 2, v49
	v_add_co_u32 v85, s0, s0, v83
	v_add_co_ci_u32_e64 v86, null, s1, 0, s0
	v_add_co_u32 v83, s0, 0x1800, v85
	v_add_co_ci_u32_e64 v84, s0, 0, v86, s0
	s_waitcnt lgkmcnt(3)
	v_lshrrev_b32_e32 v89, 16, v75
	s_waitcnt lgkmcnt(2)
	v_lshrrev_b32_e32 v90, 16, v77
	;; [unrolled: 2-line block ×4, first 2 shown]
	v_lshrrev_b32_e32 v93, 16, v76
	v_lshrrev_b32_e32 v94, 16, v78
	;; [unrolled: 1-line block ×6, first 2 shown]
	s_waitcnt vmcnt(1)
	v_mul_f16_sdwa v97, v89, v28 dst_sel:DWORD dst_unused:UNUSED_PAD src0_sel:DWORD src1_sel:WORD_1
	v_mul_f16_sdwa v98, v75, v28 dst_sel:DWORD dst_unused:UNUSED_PAD src0_sel:DWORD src1_sel:WORD_1
	;; [unrolled: 1-line block ×8, first 2 shown]
	s_waitcnt vmcnt(0)
	v_mul_f16_sdwa v105, v93, v24 dst_sel:DWORD dst_unused:UNUSED_PAD src0_sel:DWORD src1_sel:WORD_1
	v_mul_f16_sdwa v106, v76, v24 dst_sel:DWORD dst_unused:UNUSED_PAD src0_sel:DWORD src1_sel:WORD_1
	;; [unrolled: 1-line block ×8, first 2 shown]
	v_fma_f16 v75, v75, v28, -v97
	v_fmac_f16_e32 v98, v89, v28
	v_fma_f16 v77, v77, v29, -v99
	v_fmac_f16_e32 v100, v90, v29
	v_fma_f16 v79, v79, v30, -v101
	v_fmac_f16_e32 v102, v91, v30
	v_fma_f16 v81, v81, v31, -v103
	v_fmac_f16_e32 v104, v92, v31
	v_fma_f16 v76, v76, v24, -v105
	v_fmac_f16_e32 v106, v93, v24
	v_fma_f16 v78, v78, v25, -v107
	v_fmac_f16_e32 v108, v94, v25
	v_fma_f16 v80, v80, v26, -v109
	v_fmac_f16_e32 v110, v95, v26
	v_fma_f16 v82, v82, v27, -v111
	v_fmac_f16_e32 v112, v96, v27
	v_add_f16_e32 v89, v73, v75
	v_add_f16_e32 v90, v77, v79
	v_sub_f16_e32 v93, v75, v77
	v_sub_f16_e32 v94, v81, v79
	v_add_f16_e32 v95, v75, v81
	v_add_f16_e32 v99, v87, v98
	;; [unrolled: 1-line block ×4, first 2 shown]
	v_sub_f16_e32 v91, v98, v104
	v_sub_f16_e32 v96, v77, v75
	;; [unrolled: 1-line block ×7, first 2 shown]
	v_add_f16_e32 v114, v78, v80
	v_add_f16_e32 v119, v76, v82
	;; [unrolled: 1-line block ×4, first 2 shown]
	v_sub_f16_e32 v75, v75, v81
	v_sub_f16_e32 v103, v77, v79
	v_add_f16_e32 v113, v74, v76
	v_add_f16_e32 v122, v88, v106
	v_add_f16_e32 v77, v89, v77
	v_fma_f16 v89, -0.5, v90, v73
	v_add_f16_e32 v90, v93, v94
	v_fma_f16 v73, -0.5, v95, v73
	v_add_f16_e32 v94, v99, v100
	v_fma_f16 v95, -0.5, v101, v87
	v_sub_f16_e32 v92, v100, v102
	v_fmac_f16_e32 v87, -0.5, v109
	v_sub_f16_e32 v116, v108, v110
	v_sub_f16_e32 v124, v78, v80
	v_add_f16_e32 v93, v96, v97
	v_add_f16_e32 v96, v105, v107
	;; [unrolled: 1-line block ×3, first 2 shown]
	v_fma_f16 v98, -0.5, v114, v74
	v_fmac_f16_e32 v74, -0.5, v119
	v_fma_f16 v105, -0.5, v123, v88
	v_fmac_f16_e32 v88, -0.5, v127
	v_sub_f16_e32 v115, v106, v112
	v_sub_f16_e32 v117, v76, v78
	;; [unrolled: 1-line block ×4, first 2 shown]
	v_add_f16_e32 v78, v113, v78
	v_add_f16_e32 v101, v122, v108
	;; [unrolled: 1-line block ×3, first 2 shown]
	v_fmamk_f16 v79, v91, 0x3b9c, v89
	v_add_f16_e32 v94, v94, v102
	v_fmamk_f16 v102, v75, 0xbb9c, v95
	v_sub_f16_e32 v125, v106, v108
	v_sub_f16_e32 v106, v108, v106
	v_fmamk_f16 v108, v92, 0xbb9c, v73
	v_fmamk_f16 v109, v103, 0x3b9c, v87
	v_fmac_f16_e32 v73, 0x3b9c, v92
	v_fmac_f16_e32 v87, 0xbb9c, v103
	;; [unrolled: 1-line block ×4, first 2 shown]
	v_sub_f16_e32 v121, v80, v82
	v_sub_f16_e32 v128, v110, v112
	v_fmamk_f16 v111, v116, 0xbb9c, v74
	v_fmamk_f16 v113, v124, 0x3b9c, v88
	v_sub_f16_e32 v118, v82, v80
	v_sub_f16_e32 v126, v112, v110
	v_add_f16_e32 v78, v78, v80
	v_fmamk_f16 v80, v115, 0x3b9c, v98
	v_fmac_f16_e32 v98, 0xbb9c, v115
	v_fmac_f16_e32 v74, 0x3b9c, v116
	v_add_f16_e32 v101, v101, v110
	v_fmamk_f16 v110, v76, 0xbb9c, v105
	v_fmac_f16_e32 v105, 0x3b9c, v76
	v_fmac_f16_e32 v88, 0xbb9c, v124
	;; [unrolled: 1-line block ×10, first 2 shown]
	v_add_f16_e32 v100, v120, v121
	v_add_f16_e32 v106, v106, v128
	v_fmac_f16_e32 v111, 0x38b4, v115
	v_fmac_f16_e32 v113, 0xb8b4, v76
	v_add_f16_e32 v99, v117, v118
	v_add_f16_e32 v107, v125, v126
	;; [unrolled: 1-line block ×4, first 2 shown]
	v_fmac_f16_e32 v80, 0x38b4, v116
	v_fmac_f16_e32 v98, 0xb8b4, v116
	;; [unrolled: 1-line block ×8, first 2 shown]
	v_add_f16_e32 v75, v78, v82
	v_add_f16_e32 v78, v101, v112
	v_fmac_f16_e32 v108, 0x34f2, v93
	v_fmac_f16_e32 v109, 0x34f2, v97
	;; [unrolled: 1-line block ×14, first 2 shown]
	v_pack_b32_f16 v76, v77, v81
	v_pack_b32_f16 v77, v79, v102
	;; [unrolled: 1-line block ×10, first 2 shown]
	ds_write_b32 v51, v77 offset:1400
	ds_write_b32 v51, v78 offset:2800
	;; [unrolled: 1-line block ×4, first 2 shown]
	ds_write2_b32 v51, v76, v75 offset1:175
	ds_write_b32 v51, v80 offset:2100
	ds_write_b32 v51, v81 offset:3500
	;; [unrolled: 1-line block ×4, first 2 shown]
	s_waitcnt lgkmcnt(0)
	s_barrier
	buffer_gl0_inv
	global_load_dword v81, v[83:84], off offset:856
	v_add_co_u32 v73, s0, 0x1b58, v85
	v_add_co_ci_u32_e64 v74, s0, 0, v86, s0
	v_add_co_u32 v75, s0, 0x2800, v85
	v_add_co_ci_u32_e64 v76, s0, 0, v86, s0
	global_load_dword v83, v[73:74], off offset:700
	v_add_co_u32 v77, s0, 0x2000, v85
	global_load_dword v84, v[75:76], off offset:260
	v_add_co_u32 v79, s1, 0x3000, v85
	v_add_co_ci_u32_e64 v78, s0, 0, v86, s0
	s_clause 0x1
	global_load_dword v85, v[75:76], off offset:960
	global_load_dword v87, v[73:74], off offset:1400
	v_add_co_ci_u32_e64 v80, s0, 0, v86, s1
	s_clause 0x4
	global_load_dword v86, v[75:76], off offset:1660
	global_load_dword v88, v[77:78], off offset:908
	;; [unrolled: 1-line block ×5, first 2 shown]
	ds_read2_b32 v[73:74], v51 offset1:175
	v_add_nc_u32_e32 v94, 0x800, v51
	s_waitcnt lgkmcnt(0)
	v_lshrrev_b32_e32 v75, 16, v73
	s_waitcnt vmcnt(9)
	v_mul_f16_sdwa v76, v75, v81 dst_sel:DWORD dst_unused:UNUSED_PAD src0_sel:DWORD src1_sel:WORD_1
	v_mul_f16_sdwa v77, v73, v81 dst_sel:DWORD dst_unused:UNUSED_PAD src0_sel:DWORD src1_sel:WORD_1
	v_fma_f16 v73, v73, v81, -v76
	v_fmac_f16_e32 v77, v75, v81
	s_waitcnt vmcnt(8)
	v_mul_f16_sdwa v93, v74, v83 dst_sel:DWORD dst_unused:UNUSED_PAD src0_sel:DWORD src1_sel:WORD_1
	v_pack_b32_f16 v73, v73, v77
	ds_write_b32 v51, v73
	ds_read2_b32 v[75:76], v69 offset0:60 offset1:235
	ds_read2_b32 v[77:78], v62 offset0:26 offset1:201
	;; [unrolled: 1-line block ×4, first 2 shown]
	v_lshrrev_b32_e32 v73, 16, v74
	v_mul_f16_sdwa v92, v73, v83 dst_sel:DWORD dst_unused:UNUSED_PAD src0_sel:DWORD src1_sel:WORD_1
	v_fmac_f16_e32 v93, v73, v83
	v_add_nc_u32_e32 v73, 0xd00, v51
	v_fma_f16 v74, v74, v83, -v92
	v_add_nc_u32_e32 v83, 0x200, v51
	v_add_nc_u32_e32 v92, 0x1200, v51
	v_pack_b32_f16 v74, v74, v93
	s_waitcnt lgkmcnt(3)
	v_lshrrev_b32_e32 v93, 16, v76
	s_waitcnt vmcnt(7)
	v_mul_f16_sdwa v95, v76, v84 dst_sel:DWORD dst_unused:UNUSED_PAD src0_sel:DWORD src1_sel:WORD_1
	s_waitcnt lgkmcnt(2)
	v_lshrrev_b32_e32 v96, 16, v77
	s_waitcnt vmcnt(6)
	v_mul_f16_sdwa v97, v77, v85 dst_sel:DWORD dst_unused:UNUSED_PAD src0_sel:DWORD src1_sel:WORD_1
	;; [unrolled: 4-line block ×3, first 2 shown]
	v_lshrrev_b32_e32 v100, 16, v78
	s_waitcnt vmcnt(4)
	v_mul_f16_sdwa v101, v78, v86 dst_sel:DWORD dst_unused:UNUSED_PAD src0_sel:DWORD src1_sel:WORD_1
	v_lshrrev_b32_e32 v102, 16, v80
	s_waitcnt vmcnt(3)
	v_mul_f16_sdwa v103, v80, v88 dst_sel:DWORD dst_unused:UNUSED_PAD src0_sel:DWORD src1_sel:WORD_1
	s_waitcnt lgkmcnt(0)
	v_lshrrev_b32_e32 v104, 16, v81
	s_waitcnt vmcnt(2)
	v_mul_f16_sdwa v105, v81, v89 dst_sel:DWORD dst_unused:UNUSED_PAD src0_sel:DWORD src1_sel:WORD_1
	v_lshrrev_b32_e32 v106, 16, v75
	s_waitcnt vmcnt(1)
	v_mul_f16_sdwa v107, v75, v90 dst_sel:DWORD dst_unused:UNUSED_PAD src0_sel:DWORD src1_sel:WORD_1
	v_lshrrev_b32_e32 v108, 16, v82
	v_mul_f16_sdwa v110, v93, v84 dst_sel:DWORD dst_unused:UNUSED_PAD src0_sel:DWORD src1_sel:WORD_1
	v_fmac_f16_e32 v95, v93, v84
	v_mul_f16_sdwa v93, v96, v85 dst_sel:DWORD dst_unused:UNUSED_PAD src0_sel:DWORD src1_sel:WORD_1
	v_fmac_f16_e32 v97, v96, v85
	;; [unrolled: 2-line block ×6, first 2 shown]
	v_mul_f16_sdwa v104, v106, v90 dst_sel:DWORD dst_unused:UNUSED_PAD src0_sel:DWORD src1_sel:WORD_1
	s_waitcnt vmcnt(0)
	v_mul_f16_sdwa v109, v82, v91 dst_sel:DWORD dst_unused:UNUSED_PAD src0_sel:DWORD src1_sel:WORD_1
	v_fmac_f16_e32 v107, v106, v90
	v_mul_f16_sdwa v106, v108, v91 dst_sel:DWORD dst_unused:UNUSED_PAD src0_sel:DWORD src1_sel:WORD_1
	v_fma_f16 v76, v76, v84, -v110
	v_fma_f16 v77, v77, v85, -v93
	;; [unrolled: 1-line block ×7, first 2 shown]
	v_fmac_f16_e32 v109, v108, v91
	v_fma_f16 v82, v82, v91, -v106
	v_pack_b32_f16 v76, v76, v95
	v_pack_b32_f16 v77, v77, v97
	;; [unrolled: 1-line block ×8, first 2 shown]
	ds_write2_b32 v73, v76, v77 offset0:43 offset1:218
	ds_write2_b32 v83, v74, v79 offset0:47 offset1:222
	;; [unrolled: 1-line block ×4, first 2 shown]
	ds_write_b32 v51, v82 offset:6300
	s_waitcnt lgkmcnt(0)
	s_barrier
	buffer_gl0_inv
	ds_read2_b32 v[73:74], v51 offset1:175
	ds_read2_b32 v[75:76], v69 offset0:60 offset1:235
	ds_read2_b32 v[77:78], v62 offset0:26 offset1:201
	;; [unrolled: 1-line block ×4, first 2 shown]
	s_waitcnt lgkmcnt(0)
	s_barrier
	buffer_gl0_inv
	v_pk_add_f16 v83, v73, v76 neg_lo:[0,1] neg_hi:[0,1]
	v_pk_add_f16 v77, v74, v77 neg_lo:[0,1] neg_hi:[0,1]
	;; [unrolled: 1-line block ×5, first 2 shown]
	v_pk_fma_f16 v82, v73, 2.0, v83 op_sel_hi:[1,0,1] neg_lo:[0,0,1] neg_hi:[0,0,1]
	v_pk_fma_f16 v76, v74, 2.0, v77 op_sel_hi:[1,0,1] neg_lo:[0,0,1] neg_hi:[0,0,1]
	;; [unrolled: 1-line block ×5, first 2 shown]
	ds_write_b64 v54, v[82:83]
	ds_write_b64 v53, v[76:77]
	;; [unrolled: 1-line block ×5, first 2 shown]
	s_waitcnt lgkmcnt(0)
	s_barrier
	buffer_gl0_inv
	ds_read2_b32 v[53:54], v51 offset1:175
	ds_read2_b32 v[71:72], v70 offset0:30 offset1:205
	ds_read2_b32 v[73:74], v69 offset0:60 offset1:235
	;; [unrolled: 1-line block ×4, first 2 shown]
	s_waitcnt lgkmcnt(0)
	s_barrier
	buffer_gl0_inv
	v_lshrrev_b32_e32 v68, 16, v53
	v_lshrrev_b32_e32 v79, 16, v71
	;; [unrolled: 1-line block ×4, first 2 shown]
	v_mul_f16_sdwa v88, v4, v71 dst_sel:DWORD dst_unused:UNUSED_PAD src0_sel:WORD_1 src1_sel:DWORD
	v_mul_f16_sdwa v89, v5, v73 dst_sel:DWORD dst_unused:UNUSED_PAD src0_sel:WORD_1 src1_sel:DWORD
	v_lshrrev_b32_e32 v82, 16, v77
	v_mul_f16_sdwa v90, v6, v75 dst_sel:DWORD dst_unused:UNUSED_PAD src0_sel:WORD_1 src1_sel:DWORD
	v_lshrrev_b32_e32 v84, 16, v72
	v_lshrrev_b32_e32 v85, 16, v74
	;; [unrolled: 1-line block ×4, first 2 shown]
	v_mul_f16_sdwa v91, v7, v77 dst_sel:DWORD dst_unused:UNUSED_PAD src0_sel:WORD_1 src1_sel:DWORD
	v_mul_f16_sdwa v92, v0, v72 dst_sel:DWORD dst_unused:UNUSED_PAD src0_sel:WORD_1 src1_sel:DWORD
	;; [unrolled: 1-line block ×6, first 2 shown]
	v_fma_f16 v79, v4, v79, -v88
	v_mul_f16_sdwa v88, v5, v80 dst_sel:DWORD dst_unused:UNUSED_PAD src0_sel:WORD_1 src1_sel:DWORD
	v_fma_f16 v80, v5, v80, -v89
	v_mul_f16_sdwa v89, v6, v81 dst_sel:DWORD dst_unused:UNUSED_PAD src0_sel:WORD_1 src1_sel:DWORD
	;; [unrolled: 2-line block ×7, first 2 shown]
	v_lshrrev_b32_e32 v83, 16, v54
	v_fma_f16 v87, v3, v87, -v95
	v_fmac_f16_e32 v96, v4, v71
	v_fmac_f16_e32 v88, v5, v73
	;; [unrolled: 1-line block ×7, first 2 shown]
	v_add_f16_e32 v2, v68, v79
	v_add_f16_e32 v3, v80, v81
	v_sub_f16_e32 v4, v79, v80
	v_sub_f16_e32 v5, v82, v81
	v_add_f16_e32 v6, v79, v82
	v_sub_f16_e32 v7, v80, v79
	v_sub_f16_e32 v71, v81, v82
	v_fmac_f16_e32 v91, v0, v72
	v_sub_f16_e32 v0, v79, v82
	v_sub_f16_e32 v72, v84, v87
	v_add_f16_e32 v74, v83, v84
	v_add_f16_e32 v75, v85, v86
	v_sub_f16_e32 v76, v84, v85
	v_sub_f16_e32 v77, v87, v86
	v_add_f16_e32 v78, v84, v87
	v_sub_f16_e32 v79, v85, v84
	v_sub_f16_e32 v84, v86, v87
	v_add_f16_e32 v95, v53, v96
	v_add_f16_e32 v97, v88, v89
	;; [unrolled: 1-line block ×3, first 2 shown]
	v_sub_f16_e32 v1, v80, v81
	v_sub_f16_e32 v98, v96, v88
	;; [unrolled: 1-line block ×3, first 2 shown]
	v_add_f16_e32 v2, v2, v80
	v_fma_f16 v3, -0.5, v3, v68
	v_sub_f16_e32 v80, v96, v90
	v_sub_f16_e32 v96, v88, v89
	v_add_f16_e32 v4, v4, v5
	v_fmac_f16_e32 v68, -0.5, v6
	v_add_f16_e32 v5, v7, v71
	v_add_f16_e32 v7, v92, v93
	;; [unrolled: 1-line block ×3, first 2 shown]
	v_fma_f16 v75, -0.5, v75, v83
	v_add_f16_e32 v76, v76, v77
	v_fmac_f16_e32 v83, -0.5, v78
	v_add_f16_e32 v77, v79, v84
	v_add_f16_e32 v78, v95, v88
	v_fma_f16 v79, -0.5, v97, v53
	v_sub_f16_e32 v99, v90, v89
	v_fma_f16 v53, -0.5, v100, v53
	v_sub_f16_e32 v73, v85, v86
	v_add_f16_e32 v6, v54, v91
	v_add_f16_e32 v74, v74, v85
	v_sub_f16_e32 v85, v91, v94
	v_fmamk_f16 v95, v96, 0xbb9c, v68
	v_fmac_f16_e32 v68, 0x3b9c, v96
	v_fma_f16 v7, -0.5, v7, v54
	v_sub_f16_e32 v71, v91, v92
	v_sub_f16_e32 v105, v92, v91
	;; [unrolled: 1-line block ×3, first 2 shown]
	v_add_f16_e32 v2, v2, v81
	v_fmac_f16_e32 v54, -0.5, v104
	v_sub_f16_e32 v102, v89, v90
	v_fmamk_f16 v81, v80, 0x3b9c, v3
	v_add_f16_e32 v78, v78, v89
	v_fmamk_f16 v89, v0, 0xbb9c, v79
	v_add_f16_e32 v84, v98, v99
	v_fmamk_f16 v98, v1, 0x3b9c, v53
	v_fmac_f16_e32 v53, 0xbb9c, v1
	v_fmac_f16_e32 v3, 0xbb9c, v80
	;; [unrolled: 1-line block ×3, first 2 shown]
	v_sub_f16_e32 v103, v94, v93
	v_add_f16_e32 v6, v6, v92
	v_add_f16_e32 v74, v74, v86
	v_fmamk_f16 v86, v85, 0x3b9c, v75
	v_fmac_f16_e32 v95, 0x38b4, v80
	v_fmac_f16_e32 v68, 0xb8b4, v80
	v_fmamk_f16 v80, v72, 0xbb9c, v7
	v_sub_f16_e32 v106, v93, v94
	v_fmac_f16_e32 v75, 0xbb9c, v85
	v_fmamk_f16 v97, v91, 0xbb9c, v83
	v_fmac_f16_e32 v83, 0x3b9c, v91
	v_add_f16_e32 v2, v2, v82
	v_fmac_f16_e32 v7, 0x3b9c, v72
	v_fmamk_f16 v82, v73, 0x3b9c, v54
	v_fmac_f16_e32 v54, 0xbb9c, v73
	v_fmac_f16_e32 v81, 0x38b4, v96
	;; [unrolled: 1-line block ×3, first 2 shown]
	v_add_f16_e32 v88, v101, v102
	v_fmac_f16_e32 v98, 0xb8b4, v0
	v_fmac_f16_e32 v53, 0x38b4, v0
	;; [unrolled: 1-line block ×4, first 2 shown]
	v_add_f16_e32 v71, v71, v103
	v_add_f16_e32 v6, v6, v93
	v_fmac_f16_e32 v86, 0x38b4, v91
	v_fmac_f16_e32 v80, 0xb8b4, v73
	v_add_f16_e32 v92, v105, v106
	v_fmac_f16_e32 v75, 0xb8b4, v91
	v_fmac_f16_e32 v97, 0x38b4, v85
	;; [unrolled: 1-line block ×6, first 2 shown]
	v_add_f16_e32 v78, v78, v90
	v_fmac_f16_e32 v81, 0x34f2, v4
	v_fmac_f16_e32 v89, 0x34f2, v84
	;; [unrolled: 1-line block ×8, first 2 shown]
	v_add_f16_e32 v74, v74, v87
	v_add_f16_e32 v0, v6, v94
	v_fmac_f16_e32 v86, 0x34f2, v76
	v_fmac_f16_e32 v80, 0x34f2, v71
	;; [unrolled: 1-line block ×8, first 2 shown]
	v_pack_b32_f16 v1, v78, v2
	v_pack_b32_f16 v2, v89, v81
	;; [unrolled: 1-line block ×10, first 2 shown]
	ds_write2_b32 v56, v1, v2 offset1:2
	ds_write2_b32 v56, v4, v5 offset0:4 offset1:6
	ds_write_b32 v56, v3 offset:32
	ds_write2_b32 v55, v0, v6 offset1:2
	ds_write2_b32 v55, v53, v54 offset0:4 offset1:6
	ds_write_b32 v55, v7 offset:32
	s_waitcnt lgkmcnt(0)
	s_barrier
	buffer_gl0_inv
	ds_read2_b32 v[0:1], v51 offset1:175
	ds_read2_b32 v[2:3], v70 offset0:30 offset1:205
	ds_read2_b32 v[4:5], v69 offset0:60 offset1:235
	;; [unrolled: 1-line block ×4, first 2 shown]
	v_add_nc_u32_e32 v56, 0x7c0, v51
	v_add_nc_u32_e32 v62, 0xfa0, v51
	s_waitcnt lgkmcnt(0)
	s_barrier
	buffer_gl0_inv
	v_lshrrev_b32_e32 v68, 16, v0
	v_lshrrev_b32_e32 v37, 16, v2
	;; [unrolled: 1-line block ×4, first 2 shown]
	v_mul_f16_sdwa v76, v12, v2 dst_sel:DWORD dst_unused:UNUSED_PAD src0_sel:WORD_1 src1_sel:DWORD
	v_mul_f16_sdwa v77, v13, v4 dst_sel:DWORD dst_unused:UNUSED_PAD src0_sel:WORD_1 src1_sel:DWORD
	v_lshrrev_b32_e32 v71, 16, v54
	v_mul_f16_sdwa v78, v14, v6 dst_sel:DWORD dst_unused:UNUSED_PAD src0_sel:WORD_1 src1_sel:DWORD
	v_lshrrev_b32_e32 v72, 16, v3
	v_lshrrev_b32_e32 v73, 16, v5
	;; [unrolled: 1-line block ×3, first 2 shown]
	v_mul_f16_sdwa v79, v15, v54 dst_sel:DWORD dst_unused:UNUSED_PAD src0_sel:WORD_1 src1_sel:DWORD
	v_mul_f16_sdwa v80, v8, v3 dst_sel:DWORD dst_unused:UNUSED_PAD src0_sel:WORD_1 src1_sel:DWORD
	;; [unrolled: 1-line block ×3, first 2 shown]
	v_lshrrev_b32_e32 v75, 16, v55
	v_mul_f16_sdwa v82, v10, v7 dst_sel:DWORD dst_unused:UNUSED_PAD src0_sel:WORD_1 src1_sel:DWORD
	v_mul_f16_sdwa v83, v11, v55 dst_sel:DWORD dst_unused:UNUSED_PAD src0_sel:WORD_1 src1_sel:DWORD
	v_mul_f16_sdwa v84, v12, v37 dst_sel:DWORD dst_unused:UNUSED_PAD src0_sel:WORD_1 src1_sel:DWORD
	v_fma_f16 v37, v12, v37, -v76
	v_mul_f16_sdwa v76, v13, v69 dst_sel:DWORD dst_unused:UNUSED_PAD src0_sel:WORD_1 src1_sel:DWORD
	v_fma_f16 v69, v13, v69, -v77
	v_mul_f16_sdwa v77, v14, v70 dst_sel:DWORD dst_unused:UNUSED_PAD src0_sel:WORD_1 src1_sel:DWORD
	;; [unrolled: 2-line block ×7, first 2 shown]
	v_lshrrev_b32_e32 v53, 16, v1
	v_fma_f16 v75, v11, v75, -v83
	v_fmac_f16_e32 v84, v12, v2
	v_fmac_f16_e32 v76, v13, v4
	;; [unrolled: 1-line block ×7, first 2 shown]
	v_add_f16_e32 v4, v68, v37
	v_add_f16_e32 v5, v69, v70
	v_sub_f16_e32 v6, v37, v69
	v_sub_f16_e32 v7, v71, v70
	v_add_f16_e32 v8, v37, v71
	v_sub_f16_e32 v9, v69, v37
	v_sub_f16_e32 v10, v70, v71
	v_fmac_f16_e32 v82, v11, v55
	v_sub_f16_e32 v11, v72, v75
	v_add_f16_e32 v13, v53, v72
	v_add_f16_e32 v14, v73, v74
	v_sub_f16_e32 v15, v72, v73
	v_add_f16_e32 v54, v72, v75
	v_sub_f16_e32 v55, v73, v72
	v_sub_f16_e32 v72, v74, v75
	v_add_f16_e32 v83, v0, v84
	v_add_f16_e32 v85, v76, v77
	;; [unrolled: 1-line block ×3, first 2 shown]
	v_sub_f16_e32 v2, v37, v71
	v_sub_f16_e32 v3, v69, v70
	;; [unrolled: 1-line block ×5, first 2 shown]
	v_add_f16_e32 v4, v4, v69
	v_fma_f16 v5, -0.5, v5, v68
	v_sub_f16_e32 v69, v84, v78
	v_sub_f16_e32 v84, v76, v77
	v_add_f16_e32 v6, v6, v7
	v_fmac_f16_e32 v68, -0.5, v8
	v_add_f16_e32 v7, v9, v10
	v_add_f16_e32 v8, v1, v79
	;; [unrolled: 1-line block ×4, first 2 shown]
	v_fma_f16 v9, -0.5, v14, v53
	v_fmac_f16_e32 v53, -0.5, v54
	v_add_f16_e32 v54, v55, v72
	v_add_f16_e32 v55, v83, v76
	v_fma_f16 v72, -0.5, v85, v0
	v_sub_f16_e32 v87, v78, v77
	v_sub_f16_e32 v91, v79, v80
	v_sub_f16_e32 v94, v80, v79
	v_sub_f16_e32 v14, v79, v82
	v_fma_f16 v79, -0.5, v88, v0
	v_sub_f16_e32 v12, v73, v74
	v_add_f16_e32 v13, v13, v73
	v_sub_f16_e32 v73, v80, v81
	v_add_f16_e32 v15, v15, v37
	v_add_f16_e32 v0, v4, v70
	v_fmamk_f16 v70, v84, 0xbb9c, v68
	v_fmac_f16_e32 v68, 0x3b9c, v84
	v_add_f16_e32 v80, v8, v80
	v_fma_f16 v37, -0.5, v10, v1
	v_fmac_f16_e32 v1, -0.5, v93
	v_sub_f16_e32 v90, v77, v78
	v_fmamk_f16 v4, v69, 0x3b9c, v5
	v_add_f16_e32 v55, v55, v77
	v_fmamk_f16 v77, v2, 0xbb9c, v72
	v_add_f16_e32 v76, v86, v87
	v_fmamk_f16 v86, v3, 0x3b9c, v79
	v_fmac_f16_e32 v79, 0xbb9c, v3
	v_fmac_f16_e32 v5, 0xbb9c, v69
	;; [unrolled: 1-line block ×3, first 2 shown]
	v_sub_f16_e32 v92, v82, v81
	v_add_f16_e32 v13, v13, v74
	v_fmamk_f16 v74, v14, 0x3b9c, v9
	v_fmac_f16_e32 v70, 0x38b4, v69
	v_fmac_f16_e32 v68, 0xb8b4, v69
	v_add_f16_e32 v69, v80, v81
	v_fmamk_f16 v80, v11, 0xbb9c, v37
	v_sub_f16_e32 v95, v81, v82
	v_fmamk_f16 v8, v73, 0xbb9c, v53
	v_fmac_f16_e32 v53, 0x3b9c, v73
	v_add_f16_e32 v71, v0, v71
	v_fmamk_f16 v0, v12, 0x3b9c, v1
	v_fmac_f16_e32 v1, 0xbb9c, v12
	v_fmac_f16_e32 v9, 0xbb9c, v14
	;; [unrolled: 1-line block ×5, first 2 shown]
	v_add_f16_e32 v83, v89, v90
	v_fmac_f16_e32 v86, 0xb8b4, v2
	v_fmac_f16_e32 v79, 0x38b4, v2
	v_fmac_f16_e32 v5, 0xb8b4, v84
	v_fmac_f16_e32 v72, 0x38b4, v3
	v_add_f16_e32 v10, v91, v92
	v_fmac_f16_e32 v74, 0x38b4, v73
	v_fmac_f16_e32 v80, 0xb8b4, v12
	v_add_f16_e32 v85, v94, v95
	v_fmac_f16_e32 v8, 0x38b4, v14
	v_fmac_f16_e32 v53, 0xb8b4, v14
	;; [unrolled: 1-line block ×5, first 2 shown]
	v_add_f16_e32 v14, v55, v78
	v_fmac_f16_e32 v4, 0x34f2, v6
	v_fmac_f16_e32 v37, 0x38b4, v12
	;; [unrolled: 1-line block ×9, first 2 shown]
	v_add_f16_e32 v13, v13, v75
	v_add_f16_e32 v2, v69, v82
	v_fmac_f16_e32 v74, 0x34f2, v15
	v_fmac_f16_e32 v80, 0x34f2, v10
	;; [unrolled: 1-line block ×8, first 2 shown]
	v_pack_b32_f16 v3, v14, v71
	v_pack_b32_f16 v4, v77, v4
	;; [unrolled: 1-line block ×10, first 2 shown]
	ds_write2_b32 v60, v3, v4 offset1:10
	ds_write2_b32 v60, v6, v7 offset0:20 offset1:30
	ds_write_b32 v60, v5 offset:160
	ds_write2_b32 v59, v2, v10 offset1:10
	ds_write2_b32 v59, v11, v12 offset0:20 offset1:30
	ds_write_b32 v59, v13 offset:160
	s_waitcnt lgkmcnt(0)
	s_barrier
	buffer_gl0_inv
	ds_read2_b32 v[2:3], v51 offset1:250
	ds_read2_b32 v[6:7], v56 offset0:4 offset1:254
	ds_read2_b32 v[4:5], v62 offset1:250
	ds_read_b32 v10, v51 offset:6000
	s_and_saveexec_b32 s0, vcc_lo
	s_cbranch_execz .LBB0_7
; %bb.6:
	v_add_nc_u32_e32 v0, 0x2b0, v51
	v_add_nc_u32_e32 v8, 0xa80, v51
	;; [unrolled: 1-line block ×3, first 2 shown]
	ds_read2_b32 v[0:1], v0 offset0:3 offset1:253
	ds_read2_b32 v[37:38], v8 offset0:3 offset1:253
	;; [unrolled: 1-line block ×3, first 2 shown]
	ds_read_b32 v66, v51 offset:6700
	s_waitcnt lgkmcnt(3)
	v_lshrrev_b32_e32 v8, 16, v0
	v_lshrrev_b32_e32 v53, 16, v1
	s_waitcnt lgkmcnt(2)
	v_lshrrev_b32_e32 v9, 16, v37
	v_lshrrev_b32_e32 v63, 16, v38
	;; [unrolled: 3-line block ×3, first 2 shown]
	s_waitcnt lgkmcnt(0)
	v_lshrrev_b32_e32 v67, 16, v66
.LBB0_7:
	s_or_b32 exec_lo, exec_lo, s0
	s_waitcnt lgkmcnt(3)
	v_lshrrev_b32_e32 v11, 16, v3
	s_waitcnt lgkmcnt(2)
	v_lshrrev_b32_e32 v12, 16, v6
	v_lshrrev_b32_e32 v13, 16, v7
	v_mul_f16_sdwa v14, v20, v3 dst_sel:DWORD dst_unused:UNUSED_PAD src0_sel:WORD_1 src1_sel:DWORD
	s_waitcnt lgkmcnt(1)
	v_lshrrev_b32_e32 v15, 16, v4
	v_mul_f16_sdwa v54, v20, v11 dst_sel:DWORD dst_unused:UNUSED_PAD src0_sel:WORD_1 src1_sel:DWORD
	v_lshrrev_b32_e32 v55, 16, v5
	s_waitcnt lgkmcnt(0)
	v_lshrrev_b32_e32 v56, 16, v10
	v_fma_f16 v11, v20, v11, -v14
	v_mul_f16_sdwa v14, v21, v12 dst_sel:DWORD dst_unused:UNUSED_PAD src0_sel:WORD_1 src1_sel:DWORD
	v_fmac_f16_e32 v54, v20, v3
	v_mul_f16_sdwa v3, v21, v6 dst_sel:DWORD dst_unused:UNUSED_PAD src0_sel:WORD_1 src1_sel:DWORD
	v_mul_f16_sdwa v20, v22, v13 dst_sel:DWORD dst_unused:UNUSED_PAD src0_sel:WORD_1 src1_sel:DWORD
	;; [unrolled: 1-line block ×4, first 2 shown]
	v_fmac_f16_e32 v14, v21, v6
	v_fma_f16 v3, v21, v12, -v3
	v_fmac_f16_e32 v20, v22, v7
	v_fma_f16 v6, v22, v13, -v59
	v_mul_f16_sdwa v7, v36, v56 dst_sel:DWORD dst_unused:UNUSED_PAD src0_sel:WORD_1 src1_sel:DWORD
	v_mul_f16_sdwa v12, v36, v10 dst_sel:DWORD dst_unused:UNUSED_PAD src0_sel:WORD_1 src1_sel:DWORD
	;; [unrolled: 1-line block ×4, first 2 shown]
	v_fmac_f16_e32 v60, v23, v4
	v_mul_f16_sdwa v4, v23, v4 dst_sel:DWORD dst_unused:UNUSED_PAD src0_sel:WORD_1 src1_sel:DWORD
	v_fmac_f16_e32 v7, v36, v10
	v_fma_f16 v10, v36, v56, -v12
	v_fmac_f16_e32 v13, v35, v5
	v_fma_f16 v5, v35, v55, -v21
	v_fma_f16 v4, v23, v15, -v4
	v_add_f16_e32 v12, v54, v7
	v_add_f16_e32 v15, v11, v10
	v_sub_f16_e32 v10, v11, v10
	v_add_f16_e32 v11, v14, v13
	v_add_f16_e32 v21, v3, v5
	v_sub_f16_e32 v13, v14, v13
	v_sub_f16_e32 v3, v3, v5
	v_add_f16_e32 v5, v20, v60
	v_add_f16_e32 v14, v6, v4
	v_sub_f16_e32 v20, v60, v20
	v_sub_f16_e32 v4, v4, v6
	v_add_f16_e32 v6, v11, v12
	v_add_f16_e32 v22, v21, v15
	v_sub_f16_e32 v7, v54, v7
	v_sub_f16_e32 v23, v11, v12
	v_sub_f16_e32 v35, v21, v15
	v_sub_f16_e32 v12, v12, v5
	v_sub_f16_e32 v15, v15, v14
	v_sub_f16_e32 v11, v5, v11
	v_sub_f16_e32 v21, v14, v21
	v_add_f16_e32 v36, v20, v13
	v_add_f16_e32 v54, v4, v3
	v_sub_f16_e32 v55, v20, v13
	v_sub_f16_e32 v56, v4, v3
	v_add_f16_e32 v5, v5, v6
	v_add_f16_e32 v6, v14, v22
	v_sub_f16_e32 v13, v13, v7
	v_sub_f16_e32 v3, v3, v10
	;; [unrolled: 1-line block ×4, first 2 shown]
	v_add_f16_e32 v7, v36, v7
	v_add_f16_e32 v10, v54, v10
	;; [unrolled: 1-line block ×3, first 2 shown]
	v_add_f16_sdwa v2, v2, v6 dst_sel:DWORD dst_unused:UNUSED_PAD src0_sel:WORD_1 src1_sel:DWORD
	v_mul_f16_e32 v12, 0x3a52, v12
	v_mul_f16_e32 v15, 0x3a52, v15
	;; [unrolled: 1-line block ×8, first 2 shown]
	v_fmamk_f16 v5, v5, 0xbcab, v14
	v_fmamk_f16 v6, v6, 0xbcab, v2
	;; [unrolled: 1-line block ×4, first 2 shown]
	v_fma_f16 v22, v23, 0x39e0, -v22
	v_fma_f16 v36, v35, 0x39e0, -v36
	;; [unrolled: 1-line block ×4, first 2 shown]
	v_fmamk_f16 v23, v20, 0xb574, v54
	v_fmamk_f16 v35, v4, 0xb574, v55
	v_fma_f16 v13, v13, 0xbb00, -v54
	v_fma_f16 v3, v3, 0xbb00, -v55
	v_fma_f16 v20, v20, 0x3574, -v56
	v_fma_f16 v4, v4, 0x3574, -v59
	v_add_f16_e32 v11, v11, v5
	v_add_f16_e32 v21, v21, v6
	v_fmac_f16_e32 v23, 0xb70e, v7
	v_fmac_f16_e32 v35, 0xb70e, v10
	v_add_f16_e32 v22, v22, v5
	v_add_f16_e32 v36, v36, v6
	;; [unrolled: 1-line block ×4, first 2 shown]
	v_fmac_f16_e32 v13, 0xb70e, v7
	v_fmac_f16_e32 v4, 0xb70e, v10
	;; [unrolled: 1-line block ×4, first 2 shown]
	v_add_f16_e32 v7, v35, v11
	v_sub_f16_e32 v10, v21, v23
	v_add_f16_e32 v12, v4, v5
	v_sub_f16_e32 v15, v6, v20
	v_sub_f16_e32 v54, v22, v3
	v_add_f16_e32 v55, v13, v36
	v_add_f16_e32 v3, v3, v22
	v_sub_f16_e32 v13, v36, v13
	v_sub_f16_e32 v4, v5, v4
	v_add_f16_e32 v5, v20, v6
	v_sub_f16_e32 v6, v11, v35
	v_add_f16_e32 v11, v23, v21
	v_pack_b32_f16 v2, v14, v2
	v_pack_b32_f16 v7, v7, v10
	v_pack_b32_f16 v10, v12, v15
	v_pack_b32_f16 v12, v54, v55
	v_pack_b32_f16 v3, v3, v13
	v_pack_b32_f16 v4, v4, v5
	v_pack_b32_f16 v5, v6, v11
	s_barrier
	buffer_gl0_inv
	ds_write2_b32 v61, v2, v7 offset1:50
	ds_write2_b32 v61, v10, v12 offset0:100 offset1:150
	ds_write2_b32 v61, v3, v4 offset0:200 offset1:250
	ds_write_b32 v61, v5 offset:1200
	s_and_saveexec_b32 s0, vcc_lo
	s_cbranch_execz .LBB0_9
; %bb.8:
	v_mul_f16_sdwa v2, v16, v53 dst_sel:DWORD dst_unused:UNUSED_PAD src0_sel:WORD_1 src1_sel:DWORD
	v_mul_f16_sdwa v12, v34, v66 dst_sel:DWORD dst_unused:UNUSED_PAD src0_sel:WORD_1 src1_sel:DWORD
	;; [unrolled: 1-line block ×5, first 2 shown]
	v_fmac_f16_e32 v2, v16, v1
	v_mul_f16_sdwa v1, v16, v1 dst_sel:DWORD dst_unused:UNUSED_PAD src0_sel:WORD_1 src1_sel:DWORD
	v_mul_f16_sdwa v4, v18, v63 dst_sel:DWORD dst_unused:UNUSED_PAD src0_sel:WORD_1 src1_sel:DWORD
	;; [unrolled: 1-line block ×3, first 2 shown]
	v_fma_f16 v12, v34, v67, -v12
	v_mul_f16_sdwa v22, v19, v39 dst_sel:DWORD dst_unused:UNUSED_PAD src0_sel:WORD_1 src1_sel:DWORD
	v_fma_f16 v1, v16, v53, -v1
	v_mul_f16_sdwa v16, v18, v38 dst_sel:DWORD dst_unused:UNUSED_PAD src0_sel:WORD_1 src1_sel:DWORD
	v_fma_f16 v20, v33, v65, -v20
	v_fma_f16 v9, v17, v9, -v21
	v_mul_f16_sdwa v6, v33, v65 dst_sel:DWORD dst_unused:UNUSED_PAD src0_sel:WORD_1 src1_sel:DWORD
	v_mul_f16_sdwa v7, v34, v67 dst_sel:DWORD dst_unused:UNUSED_PAD src0_sel:WORD_1 src1_sel:DWORD
	v_fmac_f16_e32 v3, v19, v39
	v_fmac_f16_e32 v4, v18, v38
	;; [unrolled: 1-line block ×3, first 2 shown]
	v_add_f16_e32 v17, v12, v1
	v_fma_f16 v16, v18, v63, -v16
	v_fma_f16 v18, v19, v64, -v22
	v_add_f16_e32 v19, v20, v9
	v_fmac_f16_e32 v6, v33, v40
	v_fmac_f16_e32 v7, v34, v66
	v_sub_f16_e32 v10, v3, v4
	v_add_f16_e32 v22, v16, v18
	v_add_f16_e32 v23, v19, v17
	v_sub_f16_e32 v11, v5, v6
	v_sub_f16_e32 v13, v2, v7
	v_add_f16_e32 v2, v7, v2
	v_add_f16_e32 v5, v6, v5
	;; [unrolled: 1-line block ×3, first 2 shown]
	v_sub_f16_e32 v33, v17, v22
	v_add_f16_e32 v3, v4, v3
	v_sub_f16_e32 v16, v18, v16
	v_sub_f16_e32 v9, v9, v20
	v_add_f16_e32 v4, v8, v23
	v_add_f16_e32 v8, v5, v2
	v_mul_f16_e32 v7, 0x3a52, v33
	v_sub_f16_e32 v33, v2, v3
	v_sub_f16_e32 v1, v1, v12
	;; [unrolled: 1-line block ×3, first 2 shown]
	v_add_f16_e32 v8, v3, v8
	v_sub_f16_e32 v15, v13, v10
	v_add_f16_e32 v10, v10, v11
	v_sub_f16_e32 v6, v22, v19
	v_mul_f16_e32 v18, 0x3a52, v33
	v_sub_f16_e32 v3, v3, v5
	v_add_f16_e32 v0, v0, v8
	v_sub_f16_e32 v12, v16, v9
	v_sub_f16_e32 v11, v11, v13
	;; [unrolled: 1-line block ×3, first 2 shown]
	v_add_f16_e32 v16, v16, v9
	v_sub_f16_e32 v2, v5, v2
	v_sub_f16_e32 v5, v9, v1
	v_mul_f16_e32 v14, 0x3846, v14
	v_mul_f16_e32 v22, 0x2b26, v6
	v_fmamk_f16 v20, v3, 0x2b26, v18
	v_fmamk_f16 v8, v8, 0xbcab, v0
	v_mul_f16_e32 v12, 0x3846, v12
	v_mul_f16_e32 v35, 0xbb00, v11
	v_sub_f16_e32 v17, v19, v17
	v_mul_f16_e32 v3, 0x2b26, v3
	v_add_f16_e32 v1, v16, v1
	v_mul_f16_e32 v16, 0xbb00, v5
	v_fmamk_f16 v21, v15, 0xb574, v14
	v_add_f16_e32 v10, v10, v13
	v_fmamk_f16 v6, v6, 0x2b26, v7
	v_fmamk_f16 v23, v23, 0xbcab, v4
	v_add_f16_e32 v13, v20, v8
	v_fmamk_f16 v20, v33, 0xb574, v12
	v_fma_f16 v9, v15, 0x3574, -v35
	v_fma_f16 v7, v17, 0xb9e0, -v7
	;; [unrolled: 1-line block ×8, first 2 shown]
	v_fmac_f16_e32 v21, 0xb70e, v10
	v_add_f16_e32 v6, v6, v23
	v_fmac_f16_e32 v20, 0xb70e, v1
	v_fmac_f16_e32 v9, 0xb70e, v10
	v_add_f16_e32 v7, v7, v23
	v_add_f16_e32 v3, v17, v23
	v_fmac_f16_e32 v11, 0xb70e, v10
	v_add_f16_e32 v15, v15, v8
	v_fmac_f16_e32 v16, 0xb70e, v1
	v_fmac_f16_e32 v5, 0xb70e, v1
	v_add_f16_e32 v1, v2, v8
	v_add_f16_e32 v34, v21, v6
	v_sub_f16_e32 v2, v13, v20
	v_add_f16_e32 v8, v9, v7
	v_sub_f16_e32 v12, v3, v11
	;; [unrolled: 2-line block ×3, first 2 shown]
	v_mad_u16 v9, 0x15e, v57, v58
	v_mov_b32_e32 v11, 2
	v_sub_f16_e32 v6, v6, v21
	v_add_f16_e32 v13, v20, v13
	v_sub_f16_e32 v10, v15, v16
	v_add_f16_e32 v14, v5, v1
	v_add_f16_e32 v15, v16, v15
	v_sub_f16_e32 v1, v1, v5
	v_lshlrev_b32_sdwa v5, v11, v9 dst_sel:DWORD dst_unused:UNUSED_PAD src0_sel:DWORD src1_sel:WORD_0
	v_pack_b32_f16 v0, v0, v4
	v_pack_b32_f16 v4, v13, v6
	;; [unrolled: 1-line block ×7, first 2 shown]
	ds_write2_b32 v5, v0, v4 offset1:50
	ds_write2_b32 v5, v6, v1 offset0:100 offset1:150
	ds_write2_b32 v5, v3, v7 offset0:200 offset1:250
	ds_write_b32 v5, v2 offset:1200
.LBB0_9:
	s_or_b32 exec_lo, exec_lo, s0
	v_add_nc_u32_e32 v3, 0x500, v51
	v_add_nc_u32_e32 v13, 0xa00, v51
	;; [unrolled: 1-line block ×4, first 2 shown]
	s_waitcnt lgkmcnt(0)
	s_barrier
	buffer_gl0_inv
	ds_read2_b32 v[0:1], v51 offset1:175
	ds_read2_b32 v[5:6], v3 offset0:30 offset1:205
	ds_read2_b32 v[7:8], v13 offset0:60 offset1:235
	;; [unrolled: 1-line block ×4, first 2 shown]
	s_mov_b32 s2, 0x835d548e
	s_mov_b32 s3, 0x3f42b97d
	s_mul_i32 s7, s8, 0xfffff510
	s_waitcnt lgkmcnt(3)
	v_lshrrev_b32_e32 v16, 16, v5
	s_waitcnt lgkmcnt(2)
	v_lshrrev_b32_e32 v17, 16, v7
	;; [unrolled: 2-line block ×3, first 2 shown]
	v_mul_f16_sdwa v23, v28, v5 dst_sel:DWORD dst_unused:UNUSED_PAD src0_sel:WORD_1 src1_sel:DWORD
	v_mul_f16_sdwa v34, v29, v7 dst_sel:DWORD dst_unused:UNUSED_PAD src0_sel:WORD_1 src1_sel:DWORD
	s_waitcnt lgkmcnt(0)
	v_lshrrev_b32_e32 v19, 16, v11
	v_lshrrev_b32_e32 v20, 16, v6
	v_mul_f16_sdwa v36, v28, v16 dst_sel:DWORD dst_unused:UNUSED_PAD src0_sel:WORD_1 src1_sel:DWORD
	v_fma_f16 v16, v28, v16, -v23
	v_mul_f16_sdwa v23, v29, v17 dst_sel:DWORD dst_unused:UNUSED_PAD src0_sel:WORD_1 src1_sel:DWORD
	v_fma_f16 v17, v29, v17, -v34
	v_mul_f16_sdwa v34, v30, v18 dst_sel:DWORD dst_unused:UNUSED_PAD src0_sel:WORD_1 src1_sel:DWORD
	v_lshrrev_b32_e32 v21, 16, v8
	v_mul_f16_sdwa v35, v30, v9 dst_sel:DWORD dst_unused:UNUSED_PAD src0_sel:WORD_1 src1_sel:DWORD
	v_mul_f16_sdwa v37, v31, v19 dst_sel:DWORD dst_unused:UNUSED_PAD src0_sel:WORD_1 src1_sel:DWORD
	v_fmac_f16_e32 v36, v28, v5
	v_fmac_f16_e32 v23, v29, v7
	;; [unrolled: 1-line block ×3, first 2 shown]
	v_mul_f16_sdwa v5, v31, v11 dst_sel:DWORD dst_unused:UNUSED_PAD src0_sel:WORD_1 src1_sel:DWORD
	v_mul_f16_sdwa v7, v24, v20 dst_sel:DWORD dst_unused:UNUSED_PAD src0_sel:WORD_1 src1_sel:DWORD
	;; [unrolled: 1-line block ×3, first 2 shown]
	v_lshrrev_b32_e32 v22, 16, v10
	v_lshrrev_b32_e32 v33, 16, v12
	v_fmac_f16_e32 v37, v31, v11
	v_mul_f16_sdwa v11, v25, v21 dst_sel:DWORD dst_unused:UNUSED_PAD src0_sel:WORD_1 src1_sel:DWORD
	v_mul_f16_sdwa v28, v25, v8 dst_sel:DWORD dst_unused:UNUSED_PAD src0_sel:WORD_1 src1_sel:DWORD
	v_fma_f16 v5, v31, v19, -v5
	v_fmac_f16_e32 v7, v24, v6
	v_fma_f16 v6, v24, v20, -v9
	v_add_f16_e32 v9, v23, v34
	v_lshrrev_b32_e32 v14, 16, v0
	v_fma_f16 v18, v30, v18, -v35
	v_fmac_f16_e32 v11, v25, v8
	v_fma_f16 v8, v25, v21, -v28
	v_mul_f16_sdwa v19, v26, v22 dst_sel:DWORD dst_unused:UNUSED_PAD src0_sel:WORD_1 src1_sel:DWORD
	v_mul_f16_sdwa v20, v26, v10 dst_sel:DWORD dst_unused:UNUSED_PAD src0_sel:WORD_1 src1_sel:DWORD
	;; [unrolled: 1-line block ×3, first 2 shown]
	v_add_f16_e32 v24, v0, v36
	v_fma_f16 v9, -0.5, v9, v0
	v_sub_f16_e32 v25, v16, v5
	v_add_f16_e32 v29, v36, v37
	v_fmac_f16_e32 v19, v26, v10
	v_fma_f16 v10, v26, v22, -v20
	v_fmac_f16_e32 v21, v27, v12
	v_add_f16_e32 v20, v24, v23
	v_fmamk_f16 v22, v25, 0xbb9c, v9
	v_sub_f16_e32 v24, v17, v18
	v_sub_f16_e32 v26, v36, v23
	;; [unrolled: 1-line block ×3, first 2 shown]
	v_mul_f16_sdwa v12, v27, v12 dst_sel:DWORD dst_unused:UNUSED_PAD src0_sel:WORD_1 src1_sel:DWORD
	v_fma_f16 v0, -0.5, v29, v0
	v_fmac_f16_e32 v9, 0x3b9c, v25
	v_add_f16_e32 v30, v14, v16
	v_fmac_f16_e32 v22, 0xb8b4, v24
	v_add_f16_e32 v26, v26, v28
	v_fma_f16 v12, v27, v33, -v12
	v_fmamk_f16 v27, v24, 0x3b9c, v0
	v_sub_f16_e32 v28, v23, v36
	v_sub_f16_e32 v29, v34, v37
	v_fmac_f16_e32 v9, 0x38b4, v24
	v_add_f16_e32 v31, v17, v18
	v_fmac_f16_e32 v0, 0xbb9c, v24
	v_add_f16_e32 v24, v30, v17
	;; [unrolled: 2-line block ×3, first 2 shown]
	v_fma_f16 v29, -0.5, v31, v14
	v_sub_f16_e32 v30, v36, v37
	v_fmac_f16_e32 v9, 0x34f2, v26
	v_add_f16_e32 v24, v24, v18
	v_add_f16_e32 v26, v16, v5
	v_fmac_f16_e32 v27, 0xb8b4, v25
	v_fmac_f16_e32 v0, 0x38b4, v25
	v_fmamk_f16 v25, v30, 0x3b9c, v29
	v_sub_f16_e32 v23, v23, v34
	v_sub_f16_e32 v31, v16, v17
	;; [unrolled: 1-line block ×3, first 2 shown]
	v_fmac_f16_e32 v14, -0.5, v26
	v_add_f16_e32 v24, v24, v5
	v_fmac_f16_e32 v29, 0xbb9c, v30
	v_sub_f16_e32 v16, v17, v16
	v_sub_f16_e32 v5, v18, v5
	v_add_f16_e32 v17, v11, v19
	v_fmac_f16_e32 v27, 0x34f2, v28
	v_fmac_f16_e32 v0, 0x34f2, v28
	;; [unrolled: 1-line block ×3, first 2 shown]
	v_add_f16_e32 v26, v31, v33
	v_fmamk_f16 v28, v23, 0xbb9c, v14
	v_fmac_f16_e32 v29, 0xb8b4, v23
	v_add_f16_e32 v5, v16, v5
	v_fmac_f16_e32 v14, 0x3b9c, v23
	v_add_f16_e32 v16, v1, v7
	v_fma_f16 v17, -0.5, v17, v1
	v_sub_f16_e32 v18, v6, v12
	v_fmac_f16_e32 v25, 0x34f2, v26
	v_fmac_f16_e32 v28, 0x38b4, v30
	;; [unrolled: 1-line block ×4, first 2 shown]
	v_add_f16_e32 v16, v16, v11
	v_fmamk_f16 v23, v18, 0xbb9c, v17
	v_sub_f16_e32 v26, v8, v10
	v_sub_f16_e32 v30, v7, v11
	v_sub_f16_e32 v31, v21, v19
	v_fmac_f16_e32 v17, 0x3b9c, v18
	v_add_f16_e32 v33, v7, v21
	v_lshrrev_b32_e32 v15, 16, v1
	v_add_f16_e32 v16, v16, v19
	v_fmac_f16_e32 v23, 0xb8b4, v26
	v_add_f16_e32 v30, v30, v31
	v_fmac_f16_e32 v17, 0x38b4, v26
	v_fmac_f16_e32 v1, -0.5, v33
	v_sub_f16_e32 v31, v11, v7
	v_sub_f16_e32 v33, v19, v21
	v_fmac_f16_e32 v28, 0x34f2, v5
	v_fmac_f16_e32 v14, 0x34f2, v5
	v_add_f16_e32 v5, v16, v21
	v_fmac_f16_e32 v23, 0x34f2, v30
	v_fmac_f16_e32 v17, 0x34f2, v30
	v_add_f16_e32 v30, v8, v10
	v_sub_f16_e32 v7, v7, v21
	v_add_f16_e32 v21, v31, v33
	v_add_f16_e32 v31, v6, v12
	v_fmamk_f16 v16, v26, 0x3b9c, v1
	v_fmac_f16_e32 v1, 0xbb9c, v26
	v_add_f16_e32 v26, v15, v6
	v_fma_f16 v30, -0.5, v30, v15
	v_sub_f16_e32 v11, v11, v19
	v_fmac_f16_e32 v15, -0.5, v31
	v_fmac_f16_e32 v16, 0xb8b4, v18
	v_fmac_f16_e32 v1, 0x38b4, v18
	v_add_f16_e32 v18, v26, v8
	v_sub_f16_e32 v19, v6, v8
	v_fmamk_f16 v31, v11, 0xbb9c, v15
	v_sub_f16_e32 v6, v8, v6
	v_sub_f16_e32 v8, v10, v12
	v_fmac_f16_e32 v15, 0x3b9c, v11
	v_fmamk_f16 v26, v7, 0x3b9c, v30
	v_fmac_f16_e32 v16, 0x34f2, v21
	v_fmac_f16_e32 v1, 0x34f2, v21
	v_sub_f16_e32 v21, v12, v10
	v_fmac_f16_e32 v30, 0xbb9c, v7
	v_add_f16_e32 v20, v20, v34
	v_add_f16_e32 v18, v18, v10
	v_fmac_f16_e32 v31, 0x38b4, v7
	v_add_f16_e32 v6, v6, v8
	v_fmac_f16_e32 v15, 0xb8b4, v7
	v_fmac_f16_e32 v26, 0x38b4, v11
	v_add_f16_e32 v10, v19, v21
	v_fmac_f16_e32 v30, 0xb8b4, v11
	v_add_f16_e32 v20, v20, v37
	v_add_f16_e32 v7, v18, v12
	v_fmac_f16_e32 v31, 0x34f2, v6
	v_fmac_f16_e32 v15, 0x34f2, v6
	v_pack_b32_f16 v6, v22, v25
	v_fmac_f16_e32 v26, 0x34f2, v10
	v_pack_b32_f16 v8, v27, v28
	v_pack_b32_f16 v0, v0, v14
	;; [unrolled: 1-line block ×3, first 2 shown]
	v_fmac_f16_e32 v30, 0x34f2, v10
	v_pack_b32_f16 v10, v20, v24
	ds_write_b32 v51, v6 offset:1400
	ds_write_b32 v51, v8 offset:2800
	;; [unrolled: 1-line block ×4, first 2 shown]
	v_pack_b32_f16 v0, v5, v7
	v_pack_b32_f16 v5, v23, v26
	;; [unrolled: 1-line block ×5, first 2 shown]
	ds_write2_b32 v51, v10, v0 offset1:175
	ds_write_b32 v51, v5 offset:2100
	ds_write_b32 v51, v6 offset:3500
	;; [unrolled: 1-line block ×4, first 2 shown]
	s_waitcnt lgkmcnt(0)
	s_barrier
	buffer_gl0_inv
	ds_read2_b32 v[5:6], v51 offset1:175
	s_waitcnt lgkmcnt(0)
	v_lshrrev_b32_e32 v7, 16, v5
	v_mul_f16_sdwa v0, v52, v7 dst_sel:DWORD dst_unused:UNUSED_PAD src0_sel:WORD_1 src1_sel:DWORD
	v_fmac_f16_e32 v0, v52, v5
	v_mul_f16_sdwa v5, v52, v5 dst_sel:DWORD dst_unused:UNUSED_PAD src0_sel:WORD_1 src1_sel:DWORD
	v_cvt_f32_f16_e32 v0, v0
	v_fma_f16 v5, v52, v7, -v5
	v_cvt_f64_f32_e32 v[0:1], v0
	v_cvt_f32_f16_e32 v5, v5
	v_cvt_f64_f32_e32 v[7:8], v5
	v_mul_f64 v[9:10], v[0:1], s[2:3]
	ds_read2_b32 v[0:1], v13 offset0:60 offset1:235
	v_mul_f64 v[7:8], v[7:8], s[2:3]
	s_waitcnt lgkmcnt(0)
	v_lshrrev_b32_e32 v17, 16, v1
	v_and_or_b32 v5, 0x1ff, v10, v9
	v_lshrrev_b32_e32 v9, 8, v10
	v_bfe_u32 v11, v10, 20, 11
	v_mul_f16_sdwa v16, v50, v17 dst_sel:DWORD dst_unused:UNUSED_PAD src0_sel:WORD_1 src1_sel:DWORD
	v_cmp_ne_u32_e32 vcc_lo, 0, v5
	v_and_or_b32 v7, 0x1ff, v8, v7
	v_lshrrev_b32_e32 v14, 8, v8
	v_bfe_u32 v15, v8, 20, 11
	v_fmac_f16_e32 v16, v50, v1
	v_cndmask_b32_e64 v5, 0, 1, vcc_lo
	v_cmp_ne_u32_e32 vcc_lo, 0, v7
	v_add_nc_u32_e32 v18, 0xfffffc10, v11
	v_mul_f16_sdwa v1, v50, v1 dst_sel:DWORD dst_unused:UNUSED_PAD src0_sel:WORD_1 src1_sel:DWORD
	v_and_or_b32 v9, 0xffe, v9, v5
	v_sub_nc_u32_e32 v5, 0x3f1, v11
	v_cndmask_b32_e64 v7, 0, 1, vcc_lo
	v_fma_f16 v1, v50, v17, -v1
	v_or_b32_e32 v12, 0x1000, v9
	v_med3_i32 v5, v5, 0, 13
	v_and_or_b32 v7, 0xffe, v14, v7
	v_sub_nc_u32_e32 v14, 0x3f1, v15
	v_cvt_f32_f16_e32 v1, v1
	v_lshrrev_b32_e32 v13, v5, v12
	v_or_b32_e32 v19, 0x1000, v7
	v_med3_i32 v20, v14, 0, 13
	v_cvt_f32_f16_e32 v14, v16
	v_lshl_or_b32 v16, v18, 12, v9
	v_lshlrev_b32_e32 v5, v5, v13
	v_lshrrev_b32_e32 v21, v20, v19
	v_cmp_ne_u32_e32 vcc_lo, v5, v12
	v_mad_u64_u32 v[11:12], null, s10, v32, 0
	v_cndmask_b32_e64 v5, 0, 1, vcc_lo
	v_cmp_gt_i32_e32 vcc_lo, 1, v18
	v_or_b32_e32 v5, v13, v5
	v_cvt_f64_f32_e32 v[13:14], v14
	v_cndmask_b32_e32 v22, v16, v5, vcc_lo
	v_lshlrev_b32_e32 v16, v20, v21
	v_mov_b32_e32 v5, v12
	v_add_nc_u32_e32 v20, 0xfffffc10, v15
	v_and_b32_e32 v12, 7, v22
	v_cmp_ne_u32_e32 vcc_lo, v16, v19
	v_mad_u64_u32 v[15:16], null, s11, v32, v[5:6]
	v_lshl_or_b32 v16, v20, 12, v7
	v_cmp_eq_u32_e64 s0, 3, v12
	v_cndmask_b32_e64 v19, 0, 1, vcc_lo
	v_cmp_lt_i32_e32 vcc_lo, 5, v12
	v_cmp_gt_i32_e64 s1, 1, v20
	v_or_b32_e32 v5, v21, v19
	v_lshrrev_b32_e32 v19, 2, v22
	s_or_b32 vcc_lo, s0, vcc_lo
	v_mul_f64 v[12:13], v[13:14], s[2:3]
	v_lshrrev_b32_e32 v21, 16, v6
	v_cndmask_b32_e64 v5, v16, v5, s1
	v_add_co_ci_u32_e32 v14, vcc_lo, 0, v19, vcc_lo
	v_cmp_ne_u32_e32 vcc_lo, 0, v9
	v_cmp_eq_u32_e64 s1, 0x40f, v18
	v_and_b32_e32 v16, 7, v5
	v_cndmask_b32_e64 v9, 0, 1, vcc_lo
	v_cmp_gt_i32_e32 vcc_lo, 31, v18
	v_cmp_eq_u32_e64 s0, 3, v16
	v_lshl_or_b32 v9, v9, 9, 0x7c00
	v_cndmask_b32_e32 v14, 0x7c00, v14, vcc_lo
	v_cmp_lt_i32_e32 vcc_lo, 5, v16
	v_cvt_f64_f32_e32 v[16:17], v1
	v_lshrrev_b32_e32 v1, 2, v5
	v_cndmask_b32_e64 v5, v14, v9, s1
	s_or_b32 vcc_lo, s0, vcc_lo
	v_and_or_b32 v12, 0x1ff, v13, v12
	v_add_co_ci_u32_e32 v1, vcc_lo, 0, v1, vcc_lo
	v_cmp_ne_u32_e32 vcc_lo, 0, v7
	v_lshrrev_b32_e32 v14, 16, v10
	v_mad_u64_u32 v[9:10], null, s8, v49, 0
	v_lshrrev_b32_e32 v18, 8, v13
	v_cndmask_b32_e64 v7, 0, 1, vcc_lo
	v_cmp_gt_i32_e32 vcc_lo, 31, v20
	v_and_or_b32 v5, 0x8000, v14, v5
	v_lshl_or_b32 v7, v7, 9, 0x7c00
	v_cndmask_b32_e32 v1, 0x7c00, v1, vcc_lo
	v_cmp_ne_u32_e32 vcc_lo, 0, v12
	v_and_b32_e32 v5, 0xffff, v5
	v_mul_f64 v[16:17], v[16:17], s[2:3]
	v_cndmask_b32_e64 v12, 0, 1, vcc_lo
	v_cmp_eq_u32_e32 vcc_lo, 0x40f, v20
	v_bfe_u32 v20, v13, 20, 11
	v_lshrrev_b32_e32 v13, 16, v13
	v_and_or_b32 v18, 0xffe, v18, v12
	v_cndmask_b32_e32 v19, v1, v7, vcc_lo
	v_mov_b32_e32 v1, v10
	v_sub_nc_u32_e32 v12, 0x3f1, v20
	v_lshrrev_b32_e32 v10, 16, v8
	v_mad_u64_u32 v[7:8], null, s9, v49, v[1:2]
	v_or_b32_e32 v1, 0x1000, v18
	v_med3_i32 v8, v12, 0, 13
	v_and_or_b32 v14, 0x8000, v10, v19
	v_mov_b32_e32 v12, v15
	v_mul_f16_sdwa v15, v48, v21 dst_sel:DWORD dst_unused:UNUSED_PAD src0_sel:WORD_1 src1_sel:DWORD
	v_lshrrev_b32_e32 v19, v8, v1
	v_mov_b32_e32 v10, v7
	v_lshl_or_b32 v5, v14, 16, v5
	v_fmac_f16_e32 v15, v48, v6
	v_add_nc_u32_e32 v14, 0xfffffc10, v20
	v_lshlrev_b32_e32 v22, v8, v19
	v_lshlrev_b64 v[7:8], 2, v[11:12]
	v_and_or_b32 v11, 0x1ff, v17, v16
	v_cvt_f32_f16_e32 v12, v15
	v_lshrrev_b32_e32 v16, 8, v17
	v_cmp_ne_u32_e32 vcc_lo, v22, v1
	v_bfe_u32 v20, v17, 20, 11
	v_mul_f16_sdwa v6, v48, v6 dst_sel:DWORD dst_unused:UNUSED_PAD src0_sel:WORD_1 src1_sel:DWORD
	v_cndmask_b32_e64 v1, 0, 1, vcc_lo
	v_cmp_ne_u32_e32 vcc_lo, 0, v11
	v_cvt_f64_f32_e32 v[11:12], v12
	v_fma_f16 v6, v48, v21, -v6
	v_or_b32_e32 v1, v19, v1
	v_cndmask_b32_e64 v15, 0, 1, vcc_lo
	v_add_co_u32 v22, vcc_lo, s4, v7
	v_add_co_ci_u32_e32 v23, vcc_lo, s5, v8, vcc_lo
	v_lshl_or_b32 v19, v14, 12, v18
	v_and_or_b32 v15, 0xffe, v16, v15
	v_sub_nc_u32_e32 v16, 0x3f1, v20
	v_cmp_gt_i32_e32 vcc_lo, 1, v14
	v_lshlrev_b64 v[7:8], 2, v[9:10]
	v_cvt_f32_f16_e32 v6, v6
	s_mul_hi_u32 s4, s8, 0xdac
	v_med3_i32 v16, v16, 0, 13
	v_cndmask_b32_e32 v1, v19, v1, vcc_lo
	v_or_b32_e32 v19, 0x1000, v15
	v_add_co_u32 v7, vcc_lo, v22, v7
	v_add_co_ci_u32_e32 v8, vcc_lo, v23, v8, vcc_lo
	v_lshrrev_b32_e32 v22, v16, v19
	v_and_b32_e32 v23, 7, v1
	v_mul_f64 v[9:10], v[11:12], s[2:3]
	global_store_dword v[7:8], v5, off
	v_lshrrev_b32_e32 v1, 2, v1
	v_lshlrev_b32_e32 v5, v16, v22
	v_cmp_lt_i32_e32 vcc_lo, 5, v23
	v_cmp_eq_u32_e64 s0, 3, v23
	v_add_nc_u32_e32 v16, 0xfffffc10, v20
	s_mul_i32 s5, s8, 0xdac
	v_cmp_ne_u32_e64 s1, v5, v19
	s_or_b32 vcc_lo, s0, vcc_lo
	v_lshl_or_b32 v12, v16, 12, v15
	v_add_co_ci_u32_e32 v1, vcc_lo, 0, v1, vcc_lo
	v_cndmask_b32_e64 v5, 0, 1, s1
	v_cmp_ne_u32_e32 vcc_lo, 0, v18
	v_or_b32_e32 v11, v22, v5
	v_cndmask_b32_e64 v18, 0, 1, vcc_lo
	v_cmp_gt_i32_e32 vcc_lo, 1, v16
	v_cvt_f64_f32_e32 v[5:6], v6
	v_and_or_b32 v9, 0x1ff, v10, v9
	v_bfe_u32 v21, v10, 20, 11
	v_lshrrev_b32_e32 v20, 8, v10
	v_cndmask_b32_e32 v19, v12, v11, vcc_lo
	v_cmp_gt_i32_e32 vcc_lo, 31, v14
	v_lshl_or_b32 v11, v18, 9, 0x7c00
	v_lshrrev_b32_e32 v10, 16, v10
	v_and_b32_e32 v18, 7, v19
	v_cndmask_b32_e32 v1, 0x7c00, v1, vcc_lo
	v_cmp_ne_u32_e32 vcc_lo, 0, v9
	v_cmp_eq_u32_e64 s0, 3, v18
	v_cndmask_b32_e64 v9, 0, 1, vcc_lo
	v_cmp_eq_u32_e32 vcc_lo, 0x40f, v14
	v_sub_nc_u32_e32 v14, 0x3f1, v21
	v_and_or_b32 v9, 0xffe, v20, v9
	v_cndmask_b32_e32 v1, v1, v11, vcc_lo
	ds_read2_b32 v[11:12], v4 offset0:26 offset1:201
	v_cmp_lt_i32_e32 vcc_lo, 5, v18
	v_mul_f64 v[4:5], v[5:6], s[2:3]
	v_lshrrev_b32_e32 v18, 2, v19
	v_med3_i32 v6, v14, 0, 13
	v_or_b32_e32 v19, 0x1000, v9
	s_or_b32 vcc_lo, s0, vcc_lo
	v_and_or_b32 v1, 0x8000, v13, v1
	v_add_co_ci_u32_e32 v14, vcc_lo, 0, v18, vcc_lo
	v_cmp_ne_u32_e32 vcc_lo, 0, v15
	v_lshrrev_b32_e32 v18, v6, v19
	v_and_b32_e32 v1, 0xffff, v1
	s_mul_i32 s0, s9, 0xdac
	v_cndmask_b32_e64 v15, 0, 1, vcc_lo
	v_cmp_gt_i32_e32 vcc_lo, 31, v16
	v_lshlrev_b32_e32 v6, v6, v18
	s_add_i32 s4, s4, s0
	v_lshl_or_b32 v15, v15, 9, 0x7c00
	v_cndmask_b32_e32 v14, 0x7c00, v14, vcc_lo
	s_waitcnt lgkmcnt(0)
	v_lshrrev_b32_e32 v20, 16, v11
	v_cmp_eq_u32_e32 vcc_lo, 0x40f, v16
	v_and_or_b32 v4, 0x1ff, v5, v4
	v_cndmask_b32_e32 v13, v14, v15, vcc_lo
	v_mul_f16_sdwa v15, v47, v20 dst_sel:DWORD dst_unused:UNUSED_PAD src0_sel:WORD_1 src1_sel:DWORD
	v_cmp_ne_u32_e32 vcc_lo, v6, v19
	v_lshrrev_b32_e32 v14, 16, v17
	v_add_nc_u32_e32 v17, 0xfffffc10, v21
	v_fmac_f16_e32 v15, v47, v11
	v_cndmask_b32_e64 v6, 0, 1, vcc_lo
	v_cmp_ne_u32_e32 vcc_lo, 0, v4
	v_and_or_b32 v16, 0x8000, v14, v13
	v_lshl_or_b32 v13, v17, 12, v9
	v_cvt_f32_f16_e32 v14, v15
	v_or_b32_e32 v6, v18, v6
	v_cndmask_b32_e64 v4, 0, 1, vcc_lo
	v_lshrrev_b32_e32 v15, 8, v5
	v_bfe_u32 v18, v5, 20, 11
	v_cmp_gt_i32_e32 vcc_lo, 1, v17
	v_lshl_or_b32 v1, v16, 16, v1
	v_mul_f16_sdwa v11, v47, v11 dst_sel:DWORD dst_unused:UNUSED_PAD src0_sel:WORD_1 src1_sel:DWORD
	v_and_or_b32 v19, 0xffe, v15, v4
	v_sub_nc_u32_e32 v4, 0x3f1, v18
	v_cndmask_b32_e32 v6, v13, v6, vcc_lo
	v_cvt_f64_f32_e32 v[13:14], v14
	v_fma_f16 v11, v47, v20, -v11
	v_or_b32_e32 v21, 0x1000, v19
	v_med3_i32 v4, v4, 0, 13
	v_and_b32_e32 v15, 7, v6
	v_lshrrev_b32_e32 v6, 2, v6
	v_cvt_f32_f16_e32 v11, v11
	v_add_nc_u32_e32 v18, 0xfffffc10, v18
	v_lshrrev_b32_e32 v16, v4, v21
	v_cmp_lt_i32_e32 vcc_lo, 5, v15
	v_cmp_eq_u32_e64 s0, 3, v15
	v_lshrrev_b32_e32 v5, 16, v5
	v_lshl_or_b32 v20, v18, 12, v19
	v_lshlrev_b32_e32 v4, v4, v16
	s_or_b32 vcc_lo, s0, vcc_lo
	v_add_co_ci_u32_e32 v6, vcc_lo, 0, v6, vcc_lo
	v_cmp_ne_u32_e32 vcc_lo, v4, v21
	v_mul_f64 v[13:14], v[13:14], s[2:3]
	v_cndmask_b32_e64 v4, 0, 1, vcc_lo
	v_cmp_ne_u32_e32 vcc_lo, 0, v9
	v_or_b32_e32 v4, v16, v4
	v_cndmask_b32_e64 v9, 0, 1, vcc_lo
	v_cmp_gt_i32_e32 vcc_lo, 31, v17
	v_cvt_f64_f32_e32 v[15:16], v11
	v_lshl_or_b32 v9, v9, 9, 0x7c00
	v_cndmask_b32_e32 v11, 0x7c00, v6, vcc_lo
	v_cmp_gt_i32_e32 vcc_lo, 1, v18
	v_cndmask_b32_e32 v20, v20, v4, vcc_lo
	v_add_co_u32 v6, vcc_lo, v7, s5
	v_add_co_ci_u32_e32 v7, vcc_lo, s4, v8, vcc_lo
	v_cmp_eq_u32_e32 vcc_lo, 0x40f, v17
	v_and_b32_e32 v8, 7, v20
	ds_read2_b32 v[3:4], v3 offset0:30 offset1:205
	v_cndmask_b32_e32 v11, v11, v9, vcc_lo
	v_and_or_b32 v9, 0x1ff, v14, v13
	v_cmp_lt_i32_e32 vcc_lo, 5, v8
	v_cmp_eq_u32_e64 s0, 3, v8
	v_lshrrev_b32_e32 v13, 2, v20
	v_lshrrev_b32_e32 v20, 8, v14
	v_cmp_ne_u32_e64 s1, 0, v9
	v_mul_f64 v[8:9], v[15:16], s[2:3]
	s_or_b32 vcc_lo, s0, vcc_lo
	v_bfe_u32 v15, v14, 20, 11
	v_add_co_ci_u32_e32 v13, vcc_lo, 0, v13, vcc_lo
	v_cndmask_b32_e64 v17, 0, 1, s1
	v_cmp_ne_u32_e32 vcc_lo, 0, v19
	v_and_or_b32 v10, 0x8000, v10, v11
	s_mul_hi_u32 s0, s8, 0xfffff510
	s_mul_i32 s1, s9, 0xfffff510
	v_and_or_b32 v19, 0xffe, v20, v17
	v_cndmask_b32_e64 v16, 0, 1, vcc_lo
	s_waitcnt lgkmcnt(0)
	v_lshrrev_b32_e32 v20, 16, v3
	v_cmp_gt_i32_e32 vcc_lo, 31, v18
	v_sub_nc_u32_e32 v17, 0x3f1, v15
	v_or_b32_e32 v21, 0x1000, v19
	v_lshl_or_b32 v16, v16, 9, 0x7c00
	v_mul_f16_sdwa v22, v46, v20 dst_sel:DWORD dst_unused:UNUSED_PAD src0_sel:WORD_1 src1_sel:DWORD
	v_cndmask_b32_e32 v13, 0x7c00, v13, vcc_lo
	v_cmp_eq_u32_e32 vcc_lo, 0x40f, v18
	v_med3_i32 v17, v17, 0, 13
	s_sub_i32 s6, s0, s8
	v_and_or_b32 v8, 0x1ff, v9, v8
	v_fmac_f16_e32 v22, v46, v3
	v_cndmask_b32_e32 v13, v13, v16, vcc_lo
	v_lshrrev_b32_e32 v16, v17, v21
	v_lshrrev_b32_e32 v18, 8, v9
	v_cmp_ne_u32_e32 vcc_lo, 0, v8
	v_mul_f16_sdwa v3, v46, v3 dst_sel:DWORD dst_unused:UNUSED_PAD src0_sel:WORD_1 src1_sel:DWORD
	v_and_or_b32 v5, 0x8000, v5, v13
	v_and_b32_e32 v13, 0xffff, v10
	v_cvt_f32_f16_e32 v10, v22
	v_lshlrev_b32_e32 v17, v17, v16
	v_cndmask_b32_e64 v8, 0, 1, vcc_lo
	v_bfe_u32 v22, v9, 20, 11
	v_lshl_or_b32 v5, v5, 16, v13
	v_cvt_f64_f32_e32 v[10:11], v10
	v_cmp_ne_u32_e32 vcc_lo, v17, v21
	v_add_nc_u32_e32 v21, 0xfffffc10, v15
	v_and_or_b32 v8, 0xffe, v18, v8
	v_sub_nc_u32_e32 v15, 0x3f1, v22
	s_add_i32 s6, s6, s1
	v_cndmask_b32_e64 v17, 0, 1, vcc_lo
	v_cmp_gt_i32_e32 vcc_lo, 1, v21
	v_or_b32_e32 v18, 0x1000, v8
	v_med3_i32 v15, v15, 0, 13
	v_fma_f16 v3, v46, v20, -v3
	v_or_b32_e32 v16, v16, v17
	v_lshl_or_b32 v17, v21, 12, v19
	v_add_nc_u32_e32 v20, 0xfffffc10, v22
	v_lshrrev_b32_e32 v23, v15, v18
	v_cvt_f32_f16_e32 v3, v3
	v_cndmask_b32_e32 v17, v17, v16, vcc_lo
	v_lshlrev_b32_e32 v24, v15, v23
	v_add_co_u32 v15, vcc_lo, v6, s7
	v_and_b32_e32 v13, 7, v17
	v_mul_f64 v[10:11], v[10:11], s[2:3]
	v_cmp_ne_u32_e64 s0, v24, v18
	v_add_co_ci_u32_e32 v16, vcc_lo, s6, v7, vcc_lo
	v_cmp_lt_i32_e32 vcc_lo, 5, v13
	global_store_dword v[6:7], v1, off
	global_store_dword v[15:16], v5, off
	v_cndmask_b32_e64 v18, 0, 1, s0
	v_cmp_eq_u32_e64 s0, 3, v13
	v_lshrrev_b32_e32 v13, 2, v17
	v_or_b32_e32 v22, v23, v18
	s_or_b32 vcc_lo, s0, vcc_lo
	v_cvt_f64_f32_e32 v[17:18], v3
	v_add_co_ci_u32_e32 v3, vcc_lo, 0, v13, vcc_lo
	v_cmp_ne_u32_e32 vcc_lo, 0, v19
	v_lshl_or_b32 v23, v20, 12, v8
	v_cndmask_b32_e64 v13, 0, 1, vcc_lo
	v_cmp_gt_i32_e32 vcc_lo, 1, v20
	v_and_or_b32 v10, 0x1ff, v11, v10
	v_bfe_u32 v24, v11, 20, 11
	v_lshl_or_b32 v13, v13, 9, 0x7c00
	v_cndmask_b32_e32 v19, v23, v22, vcc_lo
	v_cmp_gt_i32_e32 vcc_lo, 31, v21
	v_lshrrev_b32_e32 v23, 8, v11
	v_lshrrev_b32_e32 v11, 16, v11
	v_and_b32_e32 v22, 7, v19
	v_cndmask_b32_e32 v3, 0x7c00, v3, vcc_lo
	v_cmp_ne_u32_e32 vcc_lo, 0, v10
	v_cmp_eq_u32_e64 s0, 3, v22
	v_cndmask_b32_e64 v10, 0, 1, vcc_lo
	v_cmp_eq_u32_e32 vcc_lo, 0x40f, v21
	v_lshrrev_b32_e32 v21, 16, v14
	v_and_or_b32 v10, 0xffe, v23, v10
	v_cndmask_b32_e32 v3, v3, v13, vcc_lo
	v_cmp_lt_i32_e32 vcc_lo, 5, v22
	v_mul_f64 v[13:14], v[17:18], s[2:3]
	v_lshrrev_b32_e32 v18, 2, v19
	v_sub_nc_u32_e32 v23, 0x3f1, v24
	v_or_b32_e32 v19, 0x1000, v10
	s_or_b32 vcc_lo, s0, vcc_lo
	v_lshrrev_b32_e32 v17, 16, v12
	v_add_co_ci_u32_e32 v18, vcc_lo, 0, v18, vcc_lo
	v_med3_i32 v22, v23, 0, 13
	v_cmp_ne_u32_e32 vcc_lo, 0, v8
	v_mul_f16_sdwa v23, v45, v17 dst_sel:DWORD dst_unused:UNUSED_PAD src0_sel:WORD_1 src1_sel:DWORD
	v_and_or_b32 v3, 0x8000, v21, v3
	v_lshrrev_b32_e32 v25, v22, v19
	v_cndmask_b32_e64 v8, 0, 1, vcc_lo
	v_cmp_gt_i32_e32 vcc_lo, 31, v20
	v_fmac_f16_e32 v23, v45, v12
	v_and_b32_e32 v3, 0xffff, v3
	v_lshlrev_b32_e32 v21, v22, v25
	v_lshl_or_b32 v8, v8, 9, 0x7c00
	v_cndmask_b32_e32 v18, 0x7c00, v18, vcc_lo
	v_cmp_eq_u32_e32 vcc_lo, 0x40f, v20
	v_and_or_b32 v13, 0x1ff, v14, v13
	v_cvt_f32_f16_e32 v22, v23
	v_lshrrev_b32_e32 v20, 16, v9
	v_bfe_u32 v23, v14, 20, 11
	v_cndmask_b32_e32 v18, v18, v8, vcc_lo
	v_cmp_ne_u32_e32 vcc_lo, v21, v19
	v_cvt_f64_f32_e32 v[8:9], v22
	v_add_nc_u32_e32 v21, 0xfffffc10, v24
	v_lshrrev_b32_e32 v22, 8, v14
	v_and_or_b32 v18, 0x8000, v20, v18
	v_cndmask_b32_e64 v19, 0, 1, vcc_lo
	v_cmp_ne_u32_e32 vcc_lo, 0, v13
	v_lshl_or_b32 v20, v21, 12, v10
	v_mul_f16_sdwa v12, v45, v12 dst_sel:DWORD dst_unused:UNUSED_PAD src0_sel:WORD_1 src1_sel:DWORD
	v_lshl_or_b32 v1, v18, 16, v3
	v_or_b32_e32 v19, v25, v19
	v_cndmask_b32_e64 v13, 0, 1, vcc_lo
	v_cmp_gt_i32_e32 vcc_lo, 1, v21
	v_fma_f16 v12, v45, v17, -v12
	v_lshrrev_b32_e32 v14, 16, v14
	v_and_or_b32 v13, 0xffe, v22, v13
	v_sub_nc_u32_e32 v22, 0x3f1, v23
	v_cndmask_b32_e32 v19, v20, v19, vcc_lo
	v_add_co_u32 v7, vcc_lo, v15, s5
	v_or_b32_e32 v20, 0x1000, v13
	v_med3_i32 v22, v22, 0, 13
	v_and_b32_e32 v3, 7, v19
	v_mul_f64 v[5:6], v[8:9], s[2:3]
	v_add_co_ci_u32_e32 v8, vcc_lo, s4, v16, vcc_lo
	v_lshrrev_b32_e32 v18, v22, v20
	v_cmp_lt_i32_e32 vcc_lo, 5, v3
	v_cmp_eq_u32_e64 s0, 3, v3
	v_lshrrev_b32_e32 v3, 2, v19
	v_cvt_f32_f16_e32 v12, v12
	v_lshlrev_b32_e32 v9, v22, v18
	v_add_nc_u32_e32 v15, 0xfffffc10, v23
	s_or_b32 vcc_lo, s0, vcc_lo
	global_store_dword v[7:8], v1, off
	v_add_co_ci_u32_e32 v3, vcc_lo, 0, v3, vcc_lo
	v_cmp_ne_u32_e64 s1, v9, v20
	v_cmp_ne_u32_e32 vcc_lo, 0, v10
	v_lshl_or_b32 v17, v15, 12, v13
	v_cndmask_b32_e64 v9, 0, 1, s1
	v_and_or_b32 v5, 0x1ff, v6, v5
	v_bfe_u32 v19, v6, 20, 11
	v_or_b32_e32 v16, v18, v9
	v_cvt_f64_f32_e32 v[9:10], v12
	v_cndmask_b32_e64 v18, 0, 1, vcc_lo
	v_cmp_gt_i32_e32 vcc_lo, 1, v15
	v_cndmask_b32_e32 v12, v17, v16, vcc_lo
	v_cmp_gt_i32_e32 vcc_lo, 31, v21
	v_lshl_or_b32 v16, v18, 9, 0x7c00
	v_lshrrev_b32_e32 v18, 8, v6
	v_lshrrev_b32_e32 v6, 16, v6
	v_and_b32_e32 v17, 7, v12
	v_cndmask_b32_e32 v3, 0x7c00, v3, vcc_lo
	v_cmp_ne_u32_e32 vcc_lo, 0, v5
	v_lshrrev_b32_e32 v12, 2, v12
	v_cmp_eq_u32_e64 s0, 3, v17
	v_cndmask_b32_e64 v5, 0, 1, vcc_lo
	v_cmp_eq_u32_e32 vcc_lo, 0x40f, v21
	v_mul_f64 v[9:10], v[9:10], s[2:3]
	v_and_or_b32 v5, 0xffe, v18, v5
	v_cndmask_b32_e32 v3, v3, v16, vcc_lo
	v_cmp_lt_i32_e32 vcc_lo, 5, v17
	v_sub_nc_u32_e32 v16, 0x3f1, v19
	v_lshrrev_b32_e32 v18, 16, v4
	v_or_b32_e32 v17, 0x1000, v5
	v_and_or_b32 v3, 0x8000, v11, v3
	s_or_b32 vcc_lo, s0, vcc_lo
	v_med3_i32 v16, v16, 0, 13
	v_add_co_ci_u32_e32 v12, vcc_lo, 0, v12, vcc_lo
	v_cmp_ne_u32_e32 vcc_lo, 0, v13
	v_mul_f16_sdwa v21, v44, v18 dst_sel:DWORD dst_unused:UNUSED_PAD src0_sel:WORD_1 src1_sel:DWORD
	v_lshrrev_b32_e32 v20, v16, v17
	v_and_b32_e32 v3, 0xffff, v3
	v_cndmask_b32_e64 v13, 0, 1, vcc_lo
	v_cmp_gt_i32_e32 vcc_lo, 31, v15
	v_lshlrev_b32_e32 v11, v16, v20
	v_fmac_f16_e32 v21, v44, v4
	v_and_or_b32 v9, 0x1ff, v10, v9
	v_lshl_or_b32 v13, v13, 9, 0x7c00
	v_cndmask_b32_e32 v12, 0x7c00, v12, vcc_lo
	v_cmp_eq_u32_e32 vcc_lo, 0x40f, v15
	v_add_nc_u32_e32 v16, 0xfffffc10, v19
	v_bfe_u32 v19, v10, 20, 11
	v_mul_f16_sdwa v4, v44, v4 dst_sel:DWORD dst_unused:UNUSED_PAD src0_sel:WORD_1 src1_sel:DWORD
	v_cndmask_b32_e32 v13, v12, v13, vcc_lo
	v_cmp_ne_u32_e32 vcc_lo, v11, v17
	v_cvt_f32_f16_e32 v12, v21
	v_lshrrev_b32_e32 v17, 8, v10
	v_fma_f16 v4, v44, v18, -v4
	v_and_or_b32 v13, 0x8000, v14, v13
	v_cndmask_b32_e64 v15, 0, 1, vcc_lo
	v_cmp_ne_u32_e32 vcc_lo, 0, v9
	v_cvt_f64_f32_e32 v[11:12], v12
	v_lshrrev_b32_e32 v10, 16, v10
	v_lshl_or_b32 v1, v13, 16, v3
	v_or_b32_e32 v14, v20, v15
	v_lshl_or_b32 v15, v16, 12, v5
	v_cndmask_b32_e64 v9, 0, 1, vcc_lo
	v_cmp_gt_i32_e32 vcc_lo, 1, v16
	v_and_or_b32 v9, 0xffe, v17, v9
	v_cndmask_b32_e32 v14, v15, v14, vcc_lo
	v_sub_nc_u32_e32 v15, 0x3f1, v19
	v_add_co_u32 v7, vcc_lo, v7, s7
	v_or_b32_e32 v13, 0x1000, v9
	v_and_b32_e32 v3, 7, v14
	v_med3_i32 v15, v15, 0, 13
	v_add_co_ci_u32_e32 v8, vcc_lo, s6, v8, vcc_lo
	v_cmp_lt_i32_e32 vcc_lo, 5, v3
	v_lshrrev_b32_e32 v17, v15, v13
	v_cmp_eq_u32_e64 s0, 3, v3
	v_mul_f64 v[11:12], v[11:12], s[2:3]
	global_store_dword v[7:8], v1, off
	v_lshrrev_b32_e32 v1, 2, v14
	v_lshlrev_b32_e32 v3, v15, v17
	s_or_b32 vcc_lo, s0, vcc_lo
	v_add_nc_u32_e32 v15, 0xfffffc10, v19
	v_add_co_u32 v7, s1, v7, s5
	v_add_co_ci_u32_e32 v14, vcc_lo, 0, v1, vcc_lo
	v_cmp_ne_u32_e32 vcc_lo, v3, v13
	v_cvt_f32_f16_e32 v3, v4
	ds_read2_b32 v[1:2], v2 offset0:56 offset1:231
	v_add_co_ci_u32_e64 v8, s1, s4, v8, s1
	v_cndmask_b32_e64 v13, 0, 1, vcc_lo
	v_cmp_ne_u32_e32 vcc_lo, 0, v5
	v_cvt_f64_f32_e32 v[3:4], v3
	v_or_b32_e32 v13, v17, v13
	v_cndmask_b32_e64 v5, 0, 1, vcc_lo
	v_cmp_gt_i32_e32 vcc_lo, 31, v16
	v_lshl_or_b32 v17, v15, 12, v9
	v_and_or_b32 v11, 0x1ff, v12, v11
	v_bfe_u32 v18, v12, 20, 11
	v_lshl_or_b32 v5, v5, 9, 0x7c00
	v_cndmask_b32_e32 v14, 0x7c00, v14, vcc_lo
	v_cmp_gt_i32_e32 vcc_lo, 1, v15
	v_cndmask_b32_e32 v13, v17, v13, vcc_lo
	v_cmp_ne_u32_e32 vcc_lo, 0, v11
	v_lshrrev_b32_e32 v17, 8, v12
	v_lshrrev_b32_e32 v12, 16, v12
	v_cndmask_b32_e64 v11, 0, 1, vcc_lo
	v_cmp_eq_u32_e32 vcc_lo, 0x40f, v16
	v_sub_nc_u32_e32 v16, 0x3f1, v18
	v_mul_f64 v[3:4], v[3:4], s[2:3]
	v_and_or_b32 v11, 0xffe, v17, v11
	v_cndmask_b32_e32 v5, v14, v5, vcc_lo
	v_and_b32_e32 v14, 7, v13
	s_waitcnt lgkmcnt(0)
	v_lshrrev_b32_e32 v17, 16, v1
	v_med3_i32 v16, v16, 0, 13
	v_or_b32_e32 v19, 0x1000, v11
	v_cmp_lt_i32_e32 vcc_lo, 5, v14
	v_cmp_eq_u32_e64 s0, 3, v14
	v_and_or_b32 v14, 0x8000, v6, v5
	v_lshrrev_b32_e32 v5, 2, v13
	v_mul_f16_sdwa v20, v43, v17 dst_sel:DWORD dst_unused:UNUSED_PAD src0_sel:WORD_1 src1_sel:DWORD
	v_lshrrev_b32_e32 v13, v16, v19
	s_or_b32 vcc_lo, s0, vcc_lo
	v_and_b32_e32 v14, 0xffff, v14
	v_add_co_ci_u32_e32 v5, vcc_lo, 0, v5, vcc_lo
	v_cmp_ne_u32_e32 vcc_lo, 0, v9
	v_fmac_f16_e32 v20, v43, v1
	v_lshlrev_b32_e32 v16, v16, v13
	v_and_or_b32 v3, 0x1ff, v4, v3
	v_mul_f16_sdwa v1, v43, v1 dst_sel:DWORD dst_unused:UNUSED_PAD src0_sel:WORD_1 src1_sel:DWORD
	v_cndmask_b32_e64 v6, 0, 1, vcc_lo
	v_cmp_gt_i32_e32 vcc_lo, 31, v15
	v_cvt_f32_f16_e32 v9, v20
	v_fma_f16 v1, v43, v17, -v1
	v_lshl_or_b32 v21, v6, 9, 0x7c00
	v_cndmask_b32_e32 v20, 0x7c00, v5, vcc_lo
	v_cmp_ne_u32_e32 vcc_lo, v16, v19
	v_cvt_f64_f32_e32 v[5:6], v9
	v_add_nc_u32_e32 v16, 0xfffffc10, v18
	v_lshrrev_b32_e32 v18, 8, v4
	v_bfe_u32 v19, v4, 20, 11
	v_cndmask_b32_e64 v9, 0, 1, vcc_lo
	v_cmp_eq_u32_e32 vcc_lo, 0x40f, v15
	v_cvt_f32_f16_e32 v1, v1
	v_or_b32_e32 v9, v13, v9
	v_cndmask_b32_e32 v15, v20, v21, vcc_lo
	v_cmp_ne_u32_e32 vcc_lo, 0, v3
	v_lshl_or_b32 v13, v16, 12, v11
	v_and_or_b32 v10, 0x8000, v10, v15
	v_cndmask_b32_e64 v3, 0, 1, vcc_lo
	v_cmp_gt_i32_e32 vcc_lo, 1, v16
	v_lshl_or_b32 v14, v10, 16, v14
	v_and_or_b32 v3, 0xffe, v18, v3
	v_cndmask_b32_e32 v9, v13, v9, vcc_lo
	v_sub_nc_u32_e32 v13, 0x3f1, v19
	v_mul_f64 v[5:6], v[5:6], s[2:3]
	v_or_b32_e32 v18, 0x1000, v3
	v_and_b32_e32 v15, 7, v9
	v_med3_i32 v13, v13, 0, 13
	v_lshrrev_b32_e32 v9, 2, v9
	v_cmp_lt_i32_e32 vcc_lo, 5, v15
	v_cmp_eq_u32_e64 s0, 3, v15
	v_lshrrev_b32_e32 v15, v13, v18
	s_or_b32 vcc_lo, s0, vcc_lo
	v_lshlrev_b32_e32 v10, v13, v15
	v_add_co_ci_u32_e32 v13, vcc_lo, 0, v9, vcc_lo
	v_cmp_ne_u32_e32 vcc_lo, v10, v18
	v_cvt_f64_f32_e32 v[9:10], v1
	v_and_or_b32 v5, 0x1ff, v6, v5
	v_add_nc_u32_e32 v1, 0xfffffc10, v19
	v_lshrrev_b32_e32 v18, 8, v6
	v_cndmask_b32_e64 v17, 0, 1, vcc_lo
	v_cmp_gt_i32_e32 vcc_lo, 31, v16
	v_bfe_u32 v19, v6, 20, 11
	v_or_b32_e32 v15, v15, v17
	v_cndmask_b32_e32 v13, 0x7c00, v13, vcc_lo
	v_cmp_ne_u32_e32 vcc_lo, 0, v5
	v_lshl_or_b32 v17, v1, 12, v3
	v_cndmask_b32_e64 v5, 0, 1, vcc_lo
	v_cmp_ne_u32_e32 vcc_lo, 0, v11
	v_and_or_b32 v5, 0xffe, v18, v5
	v_cndmask_b32_e64 v11, 0, 1, vcc_lo
	v_cmp_gt_i32_e32 vcc_lo, 1, v1
	v_lshrrev_b32_e32 v18, 16, v0
	v_mul_f64 v[9:10], v[9:10], s[2:3]
	v_or_b32_e32 v21, 0x1000, v5
	v_lshl_or_b32 v11, v11, 9, 0x7c00
	v_cndmask_b32_e32 v15, v17, v15, vcc_lo
	v_sub_nc_u32_e32 v17, 0x3f1, v19
	v_cmp_eq_u32_e32 vcc_lo, 0x40f, v16
	v_mul_f16_sdwa v22, v42, v18 dst_sel:DWORD dst_unused:UNUSED_PAD src0_sel:WORD_1 src1_sel:DWORD
	v_add_nc_u32_e32 v19, 0xfffffc10, v19
	v_and_b32_e32 v20, 7, v15
	v_med3_i32 v17, v17, 0, 13
	v_cndmask_b32_e32 v11, v13, v11, vcc_lo
	v_fmac_f16_e32 v22, v42, v0
	v_mul_f16_sdwa v0, v42, v0 dst_sel:DWORD dst_unused:UNUSED_PAD src0_sel:WORD_1 src1_sel:DWORD
	v_cmp_lt_i32_e32 vcc_lo, 5, v20
	v_lshrrev_b32_e32 v13, v17, v21
	v_cmp_eq_u32_e64 s0, 3, v20
	v_and_or_b32 v16, 0x8000, v12, v11
	v_lshrrev_b32_e32 v11, 2, v15
	v_cvt_f32_f16_e32 v15, v22
	v_lshlrev_b32_e32 v12, v17, v13
	s_or_b32 vcc_lo, s0, vcc_lo
	v_fma_f16 v0, v42, v18, -v0
	v_add_co_ci_u32_e32 v17, vcc_lo, 0, v11, vcc_lo
	v_cmp_ne_u32_e32 vcc_lo, v12, v21
	v_cvt_f64_f32_e32 v[11:12], v15
	v_lshl_or_b32 v15, v19, 12, v5
	v_and_or_b32 v9, 0x1ff, v10, v9
	v_cvt_f32_f16_e32 v0, v0
	v_cndmask_b32_e64 v20, 0, 1, vcc_lo
	v_cmp_ne_u32_e32 vcc_lo, 0, v3
	v_lshrrev_b32_e32 v18, 16, v2
	v_or_b32_e32 v13, v13, v20
	v_cndmask_b32_e64 v3, 0, 1, vcc_lo
	v_cmp_gt_i32_e32 vcc_lo, 31, v1
	v_bfe_u32 v20, v10, 20, 11
	v_mul_f16_sdwa v22, v41, v18 dst_sel:DWORD dst_unused:UNUSED_PAD src0_sel:WORD_1 src1_sel:DWORD
	v_lshl_or_b32 v3, v3, 9, 0x7c00
	v_cndmask_b32_e32 v17, 0x7c00, v17, vcc_lo
	v_cmp_gt_i32_e32 vcc_lo, 1, v19
	v_fmac_f16_e32 v22, v41, v2
	v_mul_f16_sdwa v2, v41, v2 dst_sel:DWORD dst_unused:UNUSED_PAD src0_sel:WORD_1 src1_sel:DWORD
	v_cndmask_b32_e32 v13, v15, v13, vcc_lo
	v_cmp_ne_u32_e32 vcc_lo, 0, v9
	v_lshrrev_b32_e32 v15, 8, v10
	v_fma_f16 v2, v41, v18, -v2
	v_and_b32_e32 v21, 7, v13
	v_cndmask_b32_e64 v9, 0, 1, vcc_lo
	v_cmp_eq_u32_e32 vcc_lo, 0x40f, v1
	v_lshrrev_b32_e32 v13, 2, v13
	v_cvt_f32_f16_e32 v2, v2
	v_cmp_eq_u32_e64 s0, 3, v21
	v_and_or_b32 v9, 0xffe, v15, v9
	v_sub_nc_u32_e32 v15, 0x3f1, v20
	v_cndmask_b32_e32 v1, v17, v3, vcc_lo
	v_cmp_lt_i32_e32 vcc_lo, 5, v21
	v_lshrrev_b32_e32 v17, 16, v4
	v_mul_f64 v[3:4], v[11:12], s[2:3]
	v_or_b32_e32 v11, 0x1000, v9
	v_med3_i32 v12, v15, 0, 13
	s_or_b32 vcc_lo, s0, vcc_lo
	v_and_or_b32 v1, 0x8000, v17, v1
	v_add_co_ci_u32_e32 v13, vcc_lo, 0, v13, vcc_lo
	v_and_b32_e32 v15, 0xffff, v16
	v_lshrrev_b32_e32 v16, v12, v11
	v_cmp_ne_u32_e32 vcc_lo, 0, v5
	v_lshl_or_b32 v15, v1, 16, v15
	v_lshlrev_b32_e32 v1, v12, v16
	v_cndmask_b32_e64 v5, 0, 1, vcc_lo
	v_cmp_gt_i32_e32 vcc_lo, 31, v19
	v_lshl_or_b32 v5, v5, 9, 0x7c00
	v_cndmask_b32_e32 v12, 0x7c00, v13, vcc_lo
	v_cmp_ne_u32_e32 vcc_lo, v1, v11
	v_and_or_b32 v3, 0x1ff, v4, v3
	v_add_nc_u32_e32 v13, 0xfffffc10, v20
	v_bfe_u32 v17, v4, 20, 11
	v_cndmask_b32_e64 v1, 0, 1, vcc_lo
	v_cmp_eq_u32_e32 vcc_lo, 0x40f, v19
	v_lshrrev_b32_e32 v19, 16, v6
	v_cndmask_b32_e32 v11, v12, v5, vcc_lo
	v_cmp_ne_u32_e32 vcc_lo, 0, v3
	v_or_b32_e32 v5, v16, v1
	v_lshrrev_b32_e32 v16, 8, v4
	v_lshl_or_b32 v12, v13, 12, v9
	v_cvt_f64_f32_e32 v[0:1], v0
	v_cndmask_b32_e64 v3, 0, 1, vcc_lo
	v_cmp_gt_i32_e32 vcc_lo, 1, v13
	v_and_or_b32 v19, 0x8000, v19, v11
	v_lshrrev_b32_e32 v4, 16, v4
	v_and_or_b32 v16, 0xffe, v16, v3
	v_sub_nc_u32_e32 v3, 0x3f1, v17
	v_cndmask_b32_e32 v12, v12, v5, vcc_lo
	v_add_co_u32 v5, vcc_lo, v7, s7
	v_or_b32_e32 v21, 0x1000, v16
	v_med3_i32 v3, v3, 0, 13
	v_and_b32_e32 v20, 7, v12
	v_add_co_ci_u32_e32 v6, vcc_lo, s6, v8, vcc_lo
	v_lshrrev_b32_e32 v11, 2, v12
	v_lshrrev_b32_e32 v23, v3, v21
	v_cmp_lt_i32_e32 vcc_lo, 5, v20
	v_cmp_eq_u32_e64 s0, 3, v20
	v_cvt_f32_f16_e32 v12, v22
	v_add_nc_u32_e32 v17, 0xfffffc10, v17
	v_lshlrev_b32_e32 v3, v3, v23
	v_mul_f64 v[0:1], v[0:1], s[2:3]
	s_or_b32 vcc_lo, s0, vcc_lo
	v_add_co_ci_u32_e32 v20, vcc_lo, 0, v11, vcc_lo
	v_cmp_ne_u32_e32 vcc_lo, v3, v21
	v_cvt_f64_f32_e32 v[11:12], v12
	v_lshl_or_b32 v21, v17, 12, v16
	v_cndmask_b32_e64 v3, 0, 1, vcc_lo
	v_cmp_ne_u32_e32 vcc_lo, 0, v9
	v_or_b32_e32 v3, v23, v3
	v_cndmask_b32_e64 v9, 0, 1, vcc_lo
	v_cmp_gt_i32_e32 vcc_lo, 31, v13
	v_lshl_or_b32 v9, v9, 9, 0x7c00
	v_cndmask_b32_e32 v18, 0x7c00, v20, vcc_lo
	v_cmp_gt_i32_e32 vcc_lo, 1, v17
	v_and_or_b32 v0, 0x1ff, v1, v0
	v_cndmask_b32_e32 v20, v21, v3, vcc_lo
	v_cmp_eq_u32_e32 vcc_lo, 0x40f, v13
	v_cvt_f64_f32_e32 v[2:3], v2
	v_and_b32_e32 v21, 7, v20
	v_cndmask_b32_e32 v13, v18, v9, vcc_lo
	v_lshrrev_b32_e32 v18, 16, v10
	v_mul_f64 v[9:10], v[11:12], s[2:3]
	v_cmp_ne_u32_e32 vcc_lo, 0, v0
	v_lshrrev_b32_e32 v11, 8, v1
	v_bfe_u32 v12, v1, 20, 11
	v_and_or_b32 v13, 0x8000, v18, v13
	v_and_b32_e32 v18, 0xffff, v19
	v_cndmask_b32_e64 v0, 0, 1, vcc_lo
	v_cmp_lt_i32_e32 vcc_lo, 5, v21
	v_cmp_eq_u32_e64 s0, 3, v21
	v_lshrrev_b32_e32 v1, 16, v1
	v_lshl_or_b32 v13, v13, 16, v18
	v_lshrrev_b32_e32 v18, 2, v20
	v_and_or_b32 v0, 0xffe, v11, v0
	v_sub_nc_u32_e32 v11, 0x3f1, v12
	s_or_b32 vcc_lo, s0, vcc_lo
	v_add_nc_u32_e32 v12, 0xfffffc10, v12
	v_add_co_ci_u32_e32 v18, vcc_lo, 0, v18, vcc_lo
	v_or_b32_e32 v19, 0x1000, v0
	v_med3_i32 v11, v11, 0, 13
	v_cmp_ne_u32_e32 vcc_lo, 0, v16
	v_mul_f64 v[2:3], v[2:3], s[2:3]
	v_and_or_b32 v9, 0x1ff, v10, v9
	v_lshrrev_b32_e32 v21, 8, v10
	v_lshrrev_b32_e32 v20, v11, v19
	v_cndmask_b32_e64 v16, 0, 1, vcc_lo
	v_cmp_gt_i32_e32 vcc_lo, 31, v17
	v_bfe_u32 v22, v10, 20, 11
	v_lshrrev_b32_e32 v10, 16, v10
	v_lshlrev_b32_e32 v11, v11, v20
	v_lshl_or_b32 v16, v16, 9, 0x7c00
	v_cndmask_b32_e32 v18, 0x7c00, v18, vcc_lo
	v_cmp_ne_u32_e32 vcc_lo, 0, v9
	v_cndmask_b32_e64 v9, 0, 1, vcc_lo
	v_cmp_ne_u32_e32 vcc_lo, v11, v19
	v_sub_nc_u32_e32 v19, 0x3f1, v22
	v_and_or_b32 v9, 0xffe, v21, v9
	v_cndmask_b32_e64 v11, 0, 1, vcc_lo
	v_cmp_eq_u32_e32 vcc_lo, 0x40f, v17
	v_lshl_or_b32 v17, v12, 12, v0
	v_med3_i32 v19, v19, 0, 13
	v_and_or_b32 v2, 0x1ff, v3, v2
	v_or_b32_e32 v11, v20, v11
	v_cndmask_b32_e32 v16, v18, v16, vcc_lo
	v_or_b32_e32 v18, 0x1000, v9
	v_cmp_gt_i32_e32 vcc_lo, 1, v12
	v_lshrrev_b32_e32 v20, 8, v3
	v_bfe_u32 v21, v3, 20, 11
	v_and_or_b32 v4, 0x8000, v4, v16
	v_lshrrev_b32_e32 v3, 16, v3
	v_cndmask_b32_e32 v11, v17, v11, vcc_lo
	v_lshrrev_b32_e32 v17, v19, v18
	v_cmp_ne_u32_e32 vcc_lo, 0, v2
	v_sub_nc_u32_e32 v16, 0x3f1, v21
	v_and_b32_e32 v4, 0xffff, v4
	v_and_b32_e32 v23, 7, v11
	v_lshlrev_b32_e32 v19, v19, v17
	v_cndmask_b32_e64 v2, 0, 1, vcc_lo
	v_lshrrev_b32_e32 v11, 2, v11
	v_med3_i32 v16, v16, 0, 13
	v_cmp_lt_i32_e32 vcc_lo, 5, v23
	v_cmp_ne_u32_e64 s0, v19, v18
	v_and_or_b32 v2, 0xffe, v20, v2
	v_add_nc_u32_e32 v20, 0xfffffc10, v22
	v_cndmask_b32_e64 v18, 0, 1, s0
	v_cmp_eq_u32_e64 s0, 3, v23
	v_or_b32_e32 v19, 0x1000, v2
	v_lshl_or_b32 v22, v20, 12, v9
	v_or_b32_e32 v17, v17, v18
	s_or_b32 vcc_lo, s0, vcc_lo
	v_lshrrev_b32_e32 v18, v16, v19
	v_add_co_ci_u32_e32 v11, vcc_lo, 0, v11, vcc_lo
	v_cmp_gt_i32_e32 vcc_lo, 1, v20
	v_lshlrev_b32_e32 v16, v16, v18
	v_cndmask_b32_e32 v17, v22, v17, vcc_lo
	v_cmp_ne_u32_e32 vcc_lo, 0, v0
	v_cndmask_b32_e64 v0, 0, 1, vcc_lo
	v_cmp_ne_u32_e32 vcc_lo, v16, v19
	v_add_nc_u32_e32 v19, 0xfffffc10, v21
	v_and_b32_e32 v21, 7, v17
	v_lshl_or_b32 v0, v0, 9, 0x7c00
	v_cndmask_b32_e64 v16, 0, 1, vcc_lo
	v_cmp_gt_i32_e32 vcc_lo, 31, v12
	v_cmp_gt_i32_e64 s1, 1, v19
	v_cmp_eq_u32_e64 s0, 3, v21
	v_or_b32_e32 v16, v18, v16
	v_lshl_or_b32 v18, v19, 12, v2
	v_cndmask_b32_e32 v11, 0x7c00, v11, vcc_lo
	v_cmp_lt_i32_e32 vcc_lo, 5, v21
	v_cndmask_b32_e64 v16, v18, v16, s1
	v_cmp_eq_u32_e64 s1, 0x40f, v12
	s_or_b32 vcc_lo, s0, vcc_lo
	v_and_b32_e32 v12, 7, v16
	v_cndmask_b32_e64 v0, v11, v0, s1
	v_lshrrev_b32_e32 v11, 2, v17
	v_cmp_gt_i32_e64 s1, 31, v20
	v_cmp_eq_u32_e64 s0, 3, v12
	v_add_co_ci_u32_e32 v11, vcc_lo, 0, v11, vcc_lo
	v_cmp_ne_u32_e32 vcc_lo, 0, v9
	v_cndmask_b32_e64 v11, 0x7c00, v11, s1
	v_cndmask_b32_e64 v9, 0, 1, vcc_lo
	v_cmp_lt_i32_e32 vcc_lo, 5, v12
	v_lshrrev_b32_e32 v12, 2, v16
	v_lshl_or_b32 v9, v9, 9, 0x7c00
	s_or_b32 vcc_lo, s0, vcc_lo
	v_add_co_ci_u32_e32 v12, vcc_lo, 0, v12, vcc_lo
	v_cmp_ne_u32_e32 vcc_lo, 0, v2
	v_cndmask_b32_e64 v2, 0, 1, vcc_lo
	v_cmp_eq_u32_e32 vcc_lo, 0x40f, v20
	v_lshl_or_b32 v2, v2, 9, 0x7c00
	v_cndmask_b32_e32 v9, v11, v9, vcc_lo
	v_cmp_gt_i32_e32 vcc_lo, 31, v19
	v_and_or_b32 v9, 0x8000, v10, v9
	v_cndmask_b32_e32 v11, 0x7c00, v12, vcc_lo
	v_cmp_eq_u32_e32 vcc_lo, 0x40f, v19
	v_and_or_b32 v12, 0x8000, v1, v0
	v_and_b32_e32 v9, 0xffff, v9
	v_cndmask_b32_e32 v2, v11, v2, vcc_lo
	v_add_co_u32 v0, vcc_lo, v5, s5
	v_add_co_ci_u32_e32 v1, vcc_lo, s4, v6, vcc_lo
	v_and_or_b32 v10, 0x8000, v3, v2
	v_add_co_u32 v2, vcc_lo, v0, s7
	v_add_co_ci_u32_e32 v3, vcc_lo, s6, v1, vcc_lo
	v_lshl_or_b32 v11, v10, 16, v9
	v_add_co_u32 v9, vcc_lo, v2, s5
	v_lshl_or_b32 v4, v12, 16, v4
	v_add_co_ci_u32_e32 v10, vcc_lo, s4, v3, vcc_lo
	global_store_dword v[7:8], v14, off
	global_store_dword v[5:6], v15, off
	;; [unrolled: 1-line block ×5, first 2 shown]
.LBB0_10:
	s_endpgm
	.section	.rodata,"a",@progbits
	.p2align	6, 0x0
	.amdhsa_kernel bluestein_single_back_len1750_dim1_half_op_CI_CI
		.amdhsa_group_segment_fixed_size 7000
		.amdhsa_private_segment_fixed_size 0
		.amdhsa_kernarg_size 104
		.amdhsa_user_sgpr_count 6
		.amdhsa_user_sgpr_private_segment_buffer 1
		.amdhsa_user_sgpr_dispatch_ptr 0
		.amdhsa_user_sgpr_queue_ptr 0
		.amdhsa_user_sgpr_kernarg_segment_ptr 1
		.amdhsa_user_sgpr_dispatch_id 0
		.amdhsa_user_sgpr_flat_scratch_init 0
		.amdhsa_user_sgpr_private_segment_size 0
		.amdhsa_wavefront_size32 1
		.amdhsa_uses_dynamic_stack 0
		.amdhsa_system_sgpr_private_segment_wavefront_offset 0
		.amdhsa_system_sgpr_workgroup_id_x 1
		.amdhsa_system_sgpr_workgroup_id_y 0
		.amdhsa_system_sgpr_workgroup_id_z 0
		.amdhsa_system_sgpr_workgroup_info 0
		.amdhsa_system_vgpr_workitem_id 0
		.amdhsa_next_free_vgpr 129
		.amdhsa_next_free_sgpr 20
		.amdhsa_reserve_vcc 1
		.amdhsa_reserve_flat_scratch 0
		.amdhsa_float_round_mode_32 0
		.amdhsa_float_round_mode_16_64 0
		.amdhsa_float_denorm_mode_32 3
		.amdhsa_float_denorm_mode_16_64 3
		.amdhsa_dx10_clamp 1
		.amdhsa_ieee_mode 1
		.amdhsa_fp16_overflow 0
		.amdhsa_workgroup_processor_mode 1
		.amdhsa_memory_ordered 1
		.amdhsa_forward_progress 0
		.amdhsa_shared_vgpr_count 0
		.amdhsa_exception_fp_ieee_invalid_op 0
		.amdhsa_exception_fp_denorm_src 0
		.amdhsa_exception_fp_ieee_div_zero 0
		.amdhsa_exception_fp_ieee_overflow 0
		.amdhsa_exception_fp_ieee_underflow 0
		.amdhsa_exception_fp_ieee_inexact 0
		.amdhsa_exception_int_div_zero 0
	.end_amdhsa_kernel
	.text
.Lfunc_end0:
	.size	bluestein_single_back_len1750_dim1_half_op_CI_CI, .Lfunc_end0-bluestein_single_back_len1750_dim1_half_op_CI_CI
                                        ; -- End function
	.section	.AMDGPU.csdata,"",@progbits
; Kernel info:
; codeLenInByte = 18720
; NumSgprs: 22
; NumVgprs: 129
; ScratchSize: 0
; MemoryBound: 0
; FloatMode: 240
; IeeeMode: 1
; LDSByteSize: 7000 bytes/workgroup (compile time only)
; SGPRBlocks: 2
; VGPRBlocks: 16
; NumSGPRsForWavesPerEU: 22
; NumVGPRsForWavesPerEU: 129
; Occupancy: 7
; WaveLimiterHint : 1
; COMPUTE_PGM_RSRC2:SCRATCH_EN: 0
; COMPUTE_PGM_RSRC2:USER_SGPR: 6
; COMPUTE_PGM_RSRC2:TRAP_HANDLER: 0
; COMPUTE_PGM_RSRC2:TGID_X_EN: 1
; COMPUTE_PGM_RSRC2:TGID_Y_EN: 0
; COMPUTE_PGM_RSRC2:TGID_Z_EN: 0
; COMPUTE_PGM_RSRC2:TIDIG_COMP_CNT: 0
	.text
	.p2alignl 6, 3214868480
	.fill 48, 4, 3214868480
	.type	__hip_cuid_6352fd8b47e3bef5,@object ; @__hip_cuid_6352fd8b47e3bef5
	.section	.bss,"aw",@nobits
	.globl	__hip_cuid_6352fd8b47e3bef5
__hip_cuid_6352fd8b47e3bef5:
	.byte	0                               ; 0x0
	.size	__hip_cuid_6352fd8b47e3bef5, 1

	.ident	"AMD clang version 19.0.0git (https://github.com/RadeonOpenCompute/llvm-project roc-6.4.0 25133 c7fe45cf4b819c5991fe208aaa96edf142730f1d)"
	.section	".note.GNU-stack","",@progbits
	.addrsig
	.addrsig_sym __hip_cuid_6352fd8b47e3bef5
	.amdgpu_metadata
---
amdhsa.kernels:
  - .args:
      - .actual_access:  read_only
        .address_space:  global
        .offset:         0
        .size:           8
        .value_kind:     global_buffer
      - .actual_access:  read_only
        .address_space:  global
        .offset:         8
        .size:           8
        .value_kind:     global_buffer
      - .actual_access:  read_only
        .address_space:  global
        .offset:         16
        .size:           8
        .value_kind:     global_buffer
      - .actual_access:  read_only
        .address_space:  global
        .offset:         24
        .size:           8
        .value_kind:     global_buffer
      - .actual_access:  read_only
        .address_space:  global
        .offset:         32
        .size:           8
        .value_kind:     global_buffer
      - .offset:         40
        .size:           8
        .value_kind:     by_value
      - .address_space:  global
        .offset:         48
        .size:           8
        .value_kind:     global_buffer
      - .address_space:  global
        .offset:         56
        .size:           8
        .value_kind:     global_buffer
      - .address_space:  global
        .offset:         64
        .size:           8
        .value_kind:     global_buffer
      - .address_space:  global
        .offset:         72
        .size:           8
        .value_kind:     global_buffer
      - .offset:         80
        .size:           4
        .value_kind:     by_value
      - .address_space:  global
        .offset:         88
        .size:           8
        .value_kind:     global_buffer
      - .address_space:  global
        .offset:         96
        .size:           8
        .value_kind:     global_buffer
    .group_segment_fixed_size: 7000
    .kernarg_segment_align: 8
    .kernarg_segment_size: 104
    .language:       OpenCL C
    .language_version:
      - 2
      - 0
    .max_flat_workgroup_size: 175
    .name:           bluestein_single_back_len1750_dim1_half_op_CI_CI
    .private_segment_fixed_size: 0
    .sgpr_count:     22
    .sgpr_spill_count: 0
    .symbol:         bluestein_single_back_len1750_dim1_half_op_CI_CI.kd
    .uniform_work_group_size: 1
    .uses_dynamic_stack: false
    .vgpr_count:     129
    .vgpr_spill_count: 0
    .wavefront_size: 32
    .workgroup_processor_mode: 1
amdhsa.target:   amdgcn-amd-amdhsa--gfx1030
amdhsa.version:
  - 1
  - 2
...

	.end_amdgpu_metadata
